;; amdgpu-corpus repo=ROCm/rccl kind=compiled arch=gfx1201 opt=O3
	.amdgcn_target "amdgcn-amd-amdhsa--gfx1201"
	.amdhsa_code_object_version 6
	.text
	.p2align	2                               ; -- Begin function _ZN12_GLOBAL__N_17runRingIm14FuncSumPostDivImE7ProtoLLLi0ELi1ELi0EEEviiP15ncclDevWorkColl
	.type	_ZN12_GLOBAL__N_17runRingIm14FuncSumPostDivImE7ProtoLLLi0ELi1ELi0EEEviiP15ncclDevWorkColl,@function
_ZN12_GLOBAL__N_17runRingIm14FuncSumPostDivImE7ProtoLLLi0ELi1ELi0EEEviiP15ncclDevWorkColl: ; @_ZN12_GLOBAL__N_17runRingIm14FuncSumPostDivImE7ProtoLLLi0ELi1ELi0EEEviiP15ncclDevWorkColl
; %bb.0:
	s_wait_loadcnt_dscnt 0x0
	s_wait_expcnt 0x0
	s_wait_samplecnt 0x0
	s_wait_bvhcnt 0x0
	s_wait_kmcnt 0x0
	v_mov_b32_e32 v4, v0
	s_trap 2
	s_clause 0x2
	flat_load_b32 v0, v[2:3]
	flat_load_b128 v[5:8], v[2:3] offset:72
	flat_load_b64 v[19:20], v[2:3] offset:88
	s_mov_b32 s0, exec_lo
                                        ; implicit-def: $vgpr17_vgpr18
                                        ; implicit-def: $vgpr25_vgpr26
	s_wait_loadcnt_dscnt 0x202
	v_and_b32_e32 v11, 0xff, v0
	v_bfe_u32 v10, v0, 8, 8
	s_delay_alu instid0(VALU_DEP_2) | instskip(SKIP_3) | instid1(VALU_DEP_1)
	v_not_b32_e32 v0, v11
	ds_load_b32 v9, v0
	ds_load_b64 v[23:24], v0
	v_add_nc_u32_e32 v12, v10, v0
	v_ashrrev_i32_e32 v13, 31, v12
	s_wait_loadcnt_dscnt 0x103
	v_mul_lo_u32 v14, v8, v12
	v_mad_co_u64_u32 v[66:67], null, v7, v12, 0
	s_delay_alu instid0(VALU_DEP_3) | instskip(NEXT) | instid1(VALU_DEP_1)
	v_mul_lo_u32 v12, v7, v13
	v_add3_u32 v71, v67, v12, v14
	s_wait_dscnt 0x1
	v_readfirstlane_b32 s12, v9
	v_cmpx_ne_u32_e64 v9, v11
	s_wait_alu 0xfffe
	s_xor_b32 s0, exec_lo, s0
	s_cbranch_execz .LBB0_6
; %bb.1:
	s_mov_b32 s1, exec_lo
                                        ; implicit-def: $vgpr17_vgpr18
                                        ; implicit-def: $vgpr25_vgpr26
	v_cmpx_ne_u32_e64 v9, v10
	s_wait_alu 0xfffe
	s_xor_b32 s1, exec_lo, s1
	s_cbranch_execz .LBB0_3
; %bb.2:
	flat_load_b64 v[10:11], v[2:3] offset:96
	v_add_nc_u32_e32 v0, v9, v0
	s_delay_alu instid0(VALU_DEP_1) | instskip(SKIP_2) | instid1(VALU_DEP_3)
	v_ashrrev_i32_e32 v9, 31, v0
	v_mul_lo_u32 v12, v8, v0
	v_mad_co_u64_u32 v[25:26], null, v7, v0, v[5:6]
	v_mul_lo_u32 v9, v7, v9
	s_delay_alu instid0(VALU_DEP_1)
	v_add3_u32 v26, v12, v26, v9
	s_wait_loadcnt_dscnt 0x0
	v_lshrrev_b64 v[17:18], 20, v[10:11]
.LBB0_3:
	s_wait_alu 0xfffe
	s_and_not1_saveexec_b32 s1, s1
	s_cbranch_execz .LBB0_5
; %bb.4:
	flat_load_b32 v0, v[2:3] offset:100
	v_add_co_u32 v25, vcc_lo, v66, v5
	s_wait_alu 0xfffd
	v_add_co_ci_u32_e64 v26, null, v71, v6, vcc_lo
	s_wait_loadcnt 0x1
	v_dual_mov_b32 v7, v19 :: v_dual_mov_b32 v8, v20
	s_wait_loadcnt_dscnt 0x0
	v_lshrrev_b32_e32 v17, 9, v0
.LBB0_5:
	s_wait_alu 0xfffe
	s_or_b32 exec_lo, exec_lo, s1
.LBB0_6:
	s_wait_alu 0xfffe
	s_and_not1_saveexec_b32 s0, s0
	s_cbranch_execz .LBB0_8
; %bb.7:
	flat_load_b64 v[7:8], v[2:3] offset:96
	v_mov_b32_e32 v25, 0
	v_mov_b32_e32 v26, 0
	s_wait_loadcnt_dscnt 0x0
	v_lshlrev_b64_e32 v[17:18], 1, v[7:8]
	v_dual_mov_b32 v8, v6 :: v_dual_mov_b32 v7, v5
.LBB0_8:
	s_wait_alu 0xfffe
	s_or_b32 exec_lo, exec_lo, s0
	s_clause 0x3
	flat_load_b32 v0, v[2:3] offset:104
	flat_load_b128 v[9:12], v[2:3] offset:16
	flat_load_u16 v14, v[2:3] offset:8
	flat_load_b32 v13, v[2:3] offset:4
	v_mov_b32_e32 v29, -1
	v_mov_b32_e32 v30, -1
	s_mov_b32 s0, exec_lo
	v_mov_b32_e32 v28, 0
	s_wait_loadcnt_dscnt 0x303
	v_alignbit_b32 v18, v0, v0, 1
	s_delay_alu instid0(VALU_DEP_1) | instskip(NEXT) | instid1(VALU_DEP_1)
	v_and_b32_e32 v27, 0x7fffffff, v18
	v_cmpx_lt_i32_e32 0, v27
	s_cbranch_execz .LBB0_12
; %bb.9:
	v_dual_mov_b32 v15, 3 :: v_dual_mov_b32 v2, 0
	v_dual_mov_b32 v16, 0 :: v_dual_mov_b32 v3, 0
	s_mov_b32 s1, exec_lo
	v_cmpx_eq_u32_e32 1, v27
; %bb.10:
	v_dual_mov_b32 v15, 1 :: v_dual_mov_b32 v2, 0
	v_mov_b32_e32 v16, 0
	v_bfrev_b32_e32 v3, 1
; %bb.11:
	s_wait_alu 0xfffe
	s_or_b32 exec_lo, exec_lo, s1
	s_delay_alu instid0(VALU_DEP_2) | instskip(NEXT) | instid1(VALU_DEP_2)
	v_cmp_lt_u64_e32 vcc_lo, v[15:16], v[27:28]
	v_or_b32_e32 v0, 2.0, v3
	v_mov_b32_e32 v16, 0
	s_wait_alu 0xfffd
	s_delay_alu instid0(VALU_DEP_2) | instskip(SKIP_1) | instid1(VALU_DEP_1)
	v_cndmask_b32_e32 v0, v0, v3, vcc_lo
	v_cndmask_b32_e64 v3, v27, 0, vcc_lo
	v_sub_nc_u32_e32 v3, v15, v3
	s_delay_alu instid0(VALU_DEP_1) | instskip(NEXT) | instid1(VALU_DEP_4)
	v_lshl_or_b32 v15, v3, 1, 1
	v_or_b32_e32 v3, 0x20000000, v0
	s_delay_alu instid0(VALU_DEP_2) | instskip(SKIP_1) | instid1(VALU_DEP_2)
	v_cmp_lt_u64_e32 vcc_lo, v[15:16], v[27:28]
	s_wait_alu 0xfffd
	v_cndmask_b32_e32 v0, v3, v0, vcc_lo
	v_cndmask_b32_e64 v3, v27, 0, vcc_lo
	s_delay_alu instid0(VALU_DEP_1) | instskip(SKIP_3) | instid1(VALU_DEP_2)
	v_sub_co_u32 v15, s1, v15, v3
	s_wait_alu 0xf1ff
	v_sub_co_ci_u32_e64 v16, null, 0, 0, s1
	v_or_b32_e32 v3, 0x10000000, v0
	v_lshlrev_b64_e32 v[15:16], 1, v[15:16]
	s_delay_alu instid0(VALU_DEP_1) | instskip(NEXT) | instid1(VALU_DEP_1)
	v_or_b32_e32 v15, 1, v15
	v_cmp_lt_u64_e32 vcc_lo, v[15:16], v[27:28]
	s_wait_alu 0xfffd
	v_cndmask_b32_e32 v0, v3, v0, vcc_lo
	v_cndmask_b32_e64 v3, v27, 0, vcc_lo
	s_delay_alu instid0(VALU_DEP_1) | instskip(SKIP_3) | instid1(VALU_DEP_2)
	v_sub_co_u32 v15, vcc_lo, v15, v3
	s_wait_alu 0xfffd
	v_subrev_co_ci_u32_e64 v16, null, 0, v16, vcc_lo
	v_or_b32_e32 v3, 0x8000000, v0
	v_lshlrev_b64_e32 v[15:16], 1, v[15:16]
	s_delay_alu instid0(VALU_DEP_1) | instskip(NEXT) | instid1(VALU_DEP_1)
	v_or_b32_e32 v15, 1, v15
	v_cmp_lt_u64_e32 vcc_lo, v[15:16], v[27:28]
	s_wait_alu 0xfffd
	v_cndmask_b32_e32 v0, v3, v0, vcc_lo
	v_cndmask_b32_e64 v3, v27, 0, vcc_lo
	s_delay_alu instid0(VALU_DEP_1) | instskip(SKIP_3) | instid1(VALU_DEP_2)
	v_sub_co_u32 v15, vcc_lo, v15, v3
	s_wait_alu 0xfffd
	v_subrev_co_ci_u32_e64 v16, null, 0, v16, vcc_lo
	;; [unrolled: 12-line block ×28, first 2 shown]
	v_or_b32_e32 v3, 1, v0
	v_lshlrev_b64_e32 v[15:16], 1, v[15:16]
	s_delay_alu instid0(VALU_DEP_1) | instskip(NEXT) | instid1(VALU_DEP_1)
	v_or_b32_e32 v15, 1, v15
	v_cmp_lt_u64_e32 vcc_lo, v[15:16], v[27:28]
	s_wait_alu 0xfffd
	v_cndmask_b32_e32 v30, v3, v0, vcc_lo
	v_cndmask_b32_e64 v0, v27, 0, vcc_lo
	s_delay_alu instid0(VALU_DEP_1) | instskip(SKIP_2) | instid1(VALU_DEP_1)
	v_sub_co_u32 v15, vcc_lo, v15, v0
	s_wait_alu 0xfffd
	v_subrev_co_ci_u32_e64 v16, null, 0, v16, vcc_lo
	v_lshlrev_b64_e32 v[15:16], 1, v[15:16]
	s_delay_alu instid0(VALU_DEP_1) | instskip(NEXT) | instid1(VALU_DEP_1)
	v_or_b32_e32 v15, 1, v15
	v_cmp_lt_u64_e32 vcc_lo, v[15:16], v[27:28]
	s_wait_alu 0xfffd
	v_cndmask_b32_e64 v0, -|v2|, v2, vcc_lo
	v_cndmask_b32_e64 v2, v27, 0, vcc_lo
	s_delay_alu instid0(VALU_DEP_1) | instskip(SKIP_3) | instid1(VALU_DEP_2)
	v_sub_co_u32 v2, vcc_lo, v15, v2
	s_wait_alu 0xfffd
	v_subrev_co_ci_u32_e64 v3, null, 0, v16, vcc_lo
	v_or_b32_e32 v15, 2.0, v0
	v_lshlrev_b64_e32 v[2:3], 1, v[2:3]
	s_delay_alu instid0(VALU_DEP_1) | instskip(NEXT) | instid1(VALU_DEP_1)
	v_or_b32_e32 v2, 1, v2
	v_cmp_lt_u64_e32 vcc_lo, v[2:3], v[27:28]
	s_wait_alu 0xfffd
	v_cndmask_b32_e32 v0, v15, v0, vcc_lo
	v_cndmask_b32_e64 v15, v27, 0, vcc_lo
	s_delay_alu instid0(VALU_DEP_1) | instskip(SKIP_3) | instid1(VALU_DEP_2)
	v_sub_co_u32 v2, vcc_lo, v2, v15
	s_wait_alu 0xfffd
	v_subrev_co_ci_u32_e64 v3, null, 0, v3, vcc_lo
	v_or_b32_e32 v15, 0x20000000, v0
	v_lshlrev_b64_e32 v[2:3], 1, v[2:3]
	s_delay_alu instid0(VALU_DEP_1) | instskip(NEXT) | instid1(VALU_DEP_1)
	v_or_b32_e32 v2, 1, v2
	v_cmp_lt_u64_e32 vcc_lo, v[2:3], v[27:28]
	s_wait_alu 0xfffd
	v_cndmask_b32_e32 v0, v15, v0, vcc_lo
	v_cndmask_b32_e64 v15, v27, 0, vcc_lo
	s_delay_alu instid0(VALU_DEP_1) | instskip(SKIP_3) | instid1(VALU_DEP_2)
	v_sub_co_u32 v2, vcc_lo, v2, v15
	s_wait_alu 0xfffd
	v_subrev_co_ci_u32_e64 v3, null, 0, v3, vcc_lo
	v_or_b32_e32 v15, 0x10000000, v0
	;; [unrolled: 12-line block ×29, first 2 shown]
	v_lshlrev_b64_e32 v[2:3], 1, v[2:3]
	s_delay_alu instid0(VALU_DEP_1) | instskip(NEXT) | instid1(VALU_DEP_1)
	v_or_b32_e32 v2, 1, v2
	v_cmp_lt_u64_e32 vcc_lo, v[2:3], v[27:28]
	s_wait_alu 0xfffd
	v_cndmask_b32_e32 v0, v15, v0, vcc_lo
	v_cndmask_b32_e64 v15, v27, 0, vcc_lo
	s_delay_alu instid0(VALU_DEP_1) | instskip(SKIP_2) | instid1(VALU_DEP_1)
	v_sub_co_u32 v2, vcc_lo, v2, v15
	s_wait_alu 0xfffd
	v_subrev_co_ci_u32_e64 v3, null, 0, v3, vcc_lo
	v_lshlrev_b64_e32 v[2:3], 1, v[2:3]
	s_delay_alu instid0(VALU_DEP_1) | instskip(NEXT) | instid1(VALU_DEP_1)
	v_or_b32_e32 v2, 1, v2
	v_cmp_ge_u64_e32 vcc_lo, v[2:3], v[27:28]
	s_wait_alu 0xfffd
	v_cndmask_b32_e64 v2, 0, 1, vcc_lo
	s_delay_alu instid0(VALU_DEP_1)
	v_or_b32_e32 v29, v0, v2
.LBB0_12:
	s_wait_alu 0xfffe
	s_or_b32 exec_lo, exec_lo, s0
	s_load_b32 s0, s[8:9], 0x0
	v_dual_mov_b32 v3, 0 :: v_dual_and_b32 v50, 31, v4
	s_mov_b32 s1, 0
	s_wait_loadcnt_dscnt 0x0
	v_lshrrev_b64 v[13:14], 31, v[13:14]
	v_mov_b32_e32 v32, 0
	v_mov_b32_e32 v33, 0
	s_delay_alu instid0(VALU_DEP_3) | instskip(NEXT) | instid1(VALU_DEP_1)
	v_and_b32_e32 v13, 3, v13
	v_and_b32_e32 v15, 0xffff, v13
	s_wait_kmcnt 0x0
	s_cmp_lt_u32 ttmp9, s0
	s_cselect_b32 s0, 12, 18
	s_wait_alu 0xfffe
	s_add_nc_u64 s[2:3], s[8:9], s[0:1]
	v_cmp_eq_u32_e64 s0, 0, v50
	global_load_u16 v0, v3, s[2:3]
	s_trap 2
	s_wait_loadcnt 0x0
	ds_load_b32 v2, v0
	s_wait_dscnt 0x0
	v_cmp_gt_i32_e32 vcc_lo, 0, v2
	v_readfirstlane_b32 s2, v2
	s_cbranch_vccnz .LBB0_14
; %bb.13:
	s_trap 2
	ds_load_b64 v[13:14], v0
	v_lshlrev_b64_e32 v[2:3], 3, v[2:3]
	s_mov_b32 s1, 1
	s_wait_dscnt 0x0
	s_delay_alu instid0(VALU_DEP_1) | instskip(SKIP_1) | instid1(VALU_DEP_2)
	v_add_co_u32 v2, vcc_lo, v13, v2
	s_wait_alu 0xfffd
	v_add_co_ci_u32_e64 v3, null, v14, v3, vcc_lo
	flat_load_b64 v[2:3], v[2:3]
	s_wait_loadcnt_dscnt 0x0
	v_mad_co_u64_u32 v[2:3], null, 0xa8, v15, v[2:3]
	s_clause 0x1
	flat_load_b64 v[36:37], v[2:3] offset:504
	flat_load_b64 v[38:39], v[2:3] offset:608
	v_add_co_u32 v34, vcc_lo, 0x1f8, v2
	s_wait_alu 0xfffd
	v_add_co_ci_u32_e64 v35, null, 0, v3, vcc_lo
	s_wait_alu 0xf1ff
	s_delay_alu instid0(VALU_DEP_2) | instskip(NEXT) | instid1(VALU_DEP_2)
	v_cndmask_b32_e64 v2, 0, v34, s0
	v_cndmask_b32_e64 v3, 0, v35, s0
	s_branch .LBB0_15
.LBB0_14:
	v_mov_b32_e32 v34, 0
	v_dual_mov_b32 v35, 0 :: v_dual_mov_b32 v2, 0
	v_mov_b32_e32 v3, 0
                                        ; implicit-def: $vgpr38_vgpr39
                                        ; implicit-def: $vgpr36_vgpr37
.LBB0_15:
	s_trap 2
	ds_load_b32 v13, v0
	s_wait_dscnt 0x0
	v_cmp_gt_i32_e32 vcc_lo, 0, v13
	s_cbranch_vccnz .LBB0_17
; %bb.16:
	s_trap 2
	ds_load_b64 v[21:22], v0
	v_mov_b32_e32 v14, 0
	s_delay_alu instid0(VALU_DEP_1) | instskip(SKIP_1) | instid1(VALU_DEP_1)
	v_lshlrev_b64_e32 v[13:14], 3, v[13:14]
	s_wait_dscnt 0x0
	v_add_co_u32 v13, vcc_lo, v21, v13
	s_wait_alu 0xfffd
	s_delay_alu instid0(VALU_DEP_2)
	v_add_co_ci_u32_e64 v14, null, v22, v14, vcc_lo
	v_cmp_eq_u32_e32 vcc_lo, 0, v50
	flat_load_b64 v[13:14], v[13:14]
	s_wait_loadcnt_dscnt 0x0
	v_mad_co_u64_u32 v[32:33], null, 0xa8, v15, v[13:14]
	s_clause 0x1
	flat_load_b64 v[48:49], v[32:33]
	flat_load_b64 v[21:22], v[32:33] offset:104
	s_wait_alu 0xfffd
	v_dual_cndmask_b32 v16, 0, v33 :: v_dual_cndmask_b32 v15, 0, v32
	s_branch .LBB0_18
.LBB0_17:
	v_mov_b32_e32 v15, 0
	v_mov_b32_e32 v16, 0
                                        ; implicit-def: $vgpr21_vgpr22
                                        ; implicit-def: $vgpr48_vgpr49
.LBB0_18:
	v_subrev_nc_u32_e32 v13, 32, v1
	s_wait_alu 0xfffe
	v_cmp_gt_u32_e32 vcc_lo, s1, v50
                                        ; implicit-def: $vgpr50_vgpr51
	v_mov_b32_e32 v52, 0
	v_mov_b32_e32 v53, 0
	v_cmp_ge_i32_e64 s0, v4, v13
	v_mov_b32_e32 v13, 0
	v_mov_b32_e32 v14, 0
	s_and_b32 s16, s0, vcc_lo
	s_wait_alu 0xfffe
	s_and_saveexec_b32 s0, s16
	s_cbranch_execz .LBB0_20
; %bb.19:
	s_clause 0x1
	flat_load_b64 v[52:53], v[2:3] offset:56
	flat_load_b64 v[50:51], v[2:3] offset:104
.LBB0_20:
	s_wait_alu 0xfffe
	s_or_b32 exec_lo, exec_lo, s0
	v_mov_b32_e32 v54, 0
	v_mov_b32_e32 v55, 0
	v_cmp_gt_u32_e64 s0, s1, v4
                                        ; implicit-def: $vgpr64_vgpr65
	s_and_saveexec_b32 s1, s0
	s_cbranch_execz .LBB0_22
; %bb.21:
	flat_load_b64 v[54:55], v[15:16] offset:56
	s_wait_loadcnt_dscnt 0x0
	flat_load_b64 v[64:65], v[54:55] scope:SCOPE_SYS
	s_wait_loadcnt 0x0
	flat_load_b128 v[13:16], v[15:16] offset:96
.LBB0_22:
	s_wait_alu 0xfffe
	s_or_b32 exec_lo, exec_lo, s1
	v_mov_b32_e32 v2, 0
	v_dual_mov_b32 v3, 0 :: v_dual_and_b32 v0, 0xffff, v0
	s_mov_b32 s17, exec_lo
	v_cmpx_ne_u64_e32 0, v[7:8]
	s_cbranch_execnz .LBB0_38
; %bb.23:
	s_wait_alu 0xfffe
	s_or_b32 exec_lo, exec_lo, s17
	s_and_saveexec_b32 s1, s16
	s_cbranch_execnz .LBB0_206
.LBB0_24:
	s_wait_alu 0xfffe
	s_or_b32 exec_lo, exec_lo, s1
	s_and_saveexec_b32 s1, s0
	s_cbranch_execz .LBB0_26
.LBB0_25:
	s_wait_loadcnt_dscnt 0x0
	flat_store_b64 v[32:33], v[15:16] offset:104
.LBB0_26:
	s_wait_alu 0xfffe
	s_or_b32 exec_lo, exec_lo, s1
	s_delay_alu instid0(SALU_CYCLE_1)
	s_mov_b32 s0, exec_lo
	v_cmpx_ne_u32_e32 32, v1
	s_cbranch_execz .LBB0_213
; %bb.27:
	s_mov_b32 s1, exec_lo
	v_cmpx_ne_u32_e64 v1, v0
	s_wait_alu 0xfffe
	s_xor_b32 s1, exec_lo, s1
	s_cbranch_execz .LBB0_211
; %bb.28:
	v_and_b32_e32 v0, 31, v31
	s_mov_b32 s2, exec_lo
	s_delay_alu instid0(VALU_DEP_1)
	v_cmpx_eq_u32_e32 0, v0
	s_cbranch_execz .LBB0_210
; %bb.29:
	s_mov_b32 s4, exec_lo
	s_mov_b32 s3, exec_lo
	s_wait_alu 0xfffe
	v_mbcnt_lo_u32_b32 v0, s4, 0
	s_wait_storecnt 0x0
	s_wait_loadcnt_dscnt 0x0
	global_inv scope:SCOPE_DEV
	v_cmpx_eq_u32_e32 0, v0
	s_cbranch_execz .LBB0_31
; %bb.30:
	s_bcnt1_i32_b32 s4, s4
	s_wait_alu 0xfffe
	v_dual_mov_b32 v5, 0 :: v_dual_mov_b32 v4, s4
	s_wait_loadcnt 0x0
	ds_add_u64 v0, v[4:5]
	s_trap 2
.LBB0_31:
	s_or_b32 exec_lo, exec_lo, s3
	s_trap 2
	ds_load_b64 v[4:5], v0
	s_wait_dscnt 0x0
	global_inv scope:SCOPE_SE
	v_lshrrev_b32_e32 v0, 5, v1
	s_mov_b32 s3, exec_lo
	s_delay_alu instid0(VALU_DEP_1) | instskip(SKIP_2) | instid1(VALU_DEP_1)
	v_add_co_u32 v0, vcc_lo, v2, v0
	s_wait_alu 0xfffd
	v_add_co_ci_u32_e64 v1, null, 0, v3, vcc_lo
	v_cmpx_lt_u64_e64 v[4:5], v[0:1]
	s_cbranch_execz .LBB0_209
; %bb.32:
	s_mov_b32 s4, 0
	s_mov_b32 s7, 0
                                        ; implicit-def: $sgpr5
                                        ; implicit-def: $sgpr6
	s_branch .LBB0_34
.LBB0_33:                               ;   in Loop: Header=BB0_34 Depth=1
	s_wait_alu 0xfffe
	s_or_b32 exec_lo, exec_lo, s9
	s_delay_alu instid0(SALU_CYCLE_1)
	s_and_b32 s8, exec_lo, s10
	s_wait_alu 0xfffe
	s_or_b32 s4, s8, s4
	s_and_not1_b32 s5, s5, exec_lo
	s_and_b32 s8, s6, exec_lo
	s_wait_alu 0xfffe
	s_or_b32 s5, s5, s8
	s_and_not1_b32 exec_lo, exec_lo, s4
	s_cbranch_execz .LBB0_207
.LBB0_34:                               ; =>This Inner Loop Header: Depth=1
	s_wait_alu 0xfffe
	s_add_co_i32 s7, s7, 1
	s_wait_alu 0xfffe
	s_cmp_lg_u32 s7, 0x2710
	s_cselect_b32 s8, -1, 0
	s_wait_alu 0xfffe
	s_and_b32 vcc_lo, exec_lo, s8
	s_wait_alu 0xfffe
	s_cbranch_vccz .LBB0_36
; %bb.35:                               ;   in Loop: Header=BB0_34 Depth=1
	s_mov_b32 s10, -1
	s_or_b32 s6, s6, exec_lo
	s_and_saveexec_b32 s9, s8
	s_cbranch_execz .LBB0_33
	s_branch .LBB0_37
.LBB0_36:                               ;   in Loop: Header=BB0_34 Depth=1
	s_trap 2
	ds_load_b64 v[2:3], v0
	s_and_not1_b32 s8, s8, exec_lo
	s_mov_b32 s7, 0
	s_wait_loadcnt_dscnt 0x0
	flat_load_b32 v2, v[2:3] scope:SCOPE_SYS
	s_wait_loadcnt_dscnt 0x0
	global_inv scope:SCOPE_SYS
	v_cmp_eq_u32_e32 vcc_lo, 0, v2
	s_and_b32 s9, vcc_lo, exec_lo
	s_wait_alu 0xfffe
	s_or_b32 s8, s8, s9
	s_mov_b32 s10, -1
	s_or_b32 s6, s6, exec_lo
	s_wait_alu 0xfffe
	s_and_saveexec_b32 s9, s8
	s_cbranch_execz .LBB0_33
.LBB0_37:                               ;   in Loop: Header=BB0_34 Depth=1
	s_sleep 1
	s_trap 2
	ds_load_b64 v[2:3], v0
	s_wait_dscnt 0x0
	global_inv scope:SCOPE_SE
	s_wait_alu 0xfffe
	s_and_not1_b32 s6, s6, exec_lo
	v_cmp_ge_u64_e32 vcc_lo, v[2:3], v[0:1]
	s_or_not1_b32 s10, vcc_lo, exec_lo
	s_branch .LBB0_33
.LBB0_38:
	v_dual_mov_b32 v67, 0 :: v_dual_and_b32 v68, 0x3ffffe, v17
	v_add_co_u32 v2, vcc_lo, v19, v5
	s_wait_alu 0xfffd
	v_add_co_ci_u32_e64 v3, null, v20, v6, vcc_lo
	s_delay_alu instid0(VALU_DEP_3) | instskip(NEXT) | instid1(VALU_DEP_3)
	v_dual_mov_b32 v69, v67 :: v_dual_mov_b32 v82, 0
	v_add_co_u32 v70, vcc_lo, v2, v66
	v_dual_mov_b32 v83, 0 :: v_dual_and_b32 v2, 31, v31
	v_mov_b32_e32 v5, v67
	s_ashr_i32 s1, s2, 31
	s_ashr_i32 s13, s12, 31
	s_wait_alu 0xfffe
	s_lshr_b32 s1, s1, 29
	v_cmp_eq_u32_e64 s5, 0, v2
	s_wait_alu 0xfffe
	s_add_co_i32 s2, s2, s1
	v_mov_b32_e32 v2, v67
	v_lshlrev_b64_e32 v[84:85], 3, v[4:5]
	s_wait_alu 0xfffe
	s_ashr_i32 s18, s2, 7
	s_lshl_b64 s[2:3], s[12:13], 2
	s_wait_alu 0xfffd
	v_add_co_ci_u32_e64 v71, null, v3, v71, vcc_lo
	s_wait_alu 0xfffe
	v_add_co_u32 v80, vcc_lo, v23, s2
	v_lshlrev_b64_e32 v[19:20], 3, v[25:26]
	s_wait_alu 0xfffd
	v_add_co_ci_u32_e64 v81, null, s3, v24, vcc_lo
	v_add_co_u32 v119, vcc_lo, v11, v84
	s_wait_alu 0xfffd
	v_add_co_ci_u32_e64 v128, null, v12, v85, vcc_lo
	v_add_co_u32 v129, vcc_lo, v9, v84
	;; [unrolled: 3-line block ×3, first 2 shown]
	v_and_b32_e32 v66, 7, v9
	v_cmp_gt_i32_e64 s8, 0, v18
	v_dual_mov_b32 v134, 1 :: v_dual_lshlrev_b32 v9, 3, v17
	v_lshlrev_b64_e32 v[17:18], 4, v[4:5]
	s_wait_alu 0xfffd
	v_add_co_ci_u32_e64 v6, null, v20, v85, vcc_lo
	v_add_co_u32 v5, vcc_lo, v11, v3
	v_and_b32_e32 v131, 0x1fffff0, v9
	s_wait_alu 0xfffd
	s_delay_alu instid0(VALU_DEP_3)
	v_add_co_ci_u32_e64 v6, null, v12, v6, vcc_lo
	v_lshlrev_b64_e32 v[86:87], 3, v[1:2]
	s_wait_loadcnt_dscnt 0x101
	v_add_co_u32 v132, vcc_lo, v48, v17
	v_lshlrev_b64_e32 v[96:97], 4, v[1:2]
	v_mov_b32_e32 v2, 0
	v_cmp_ne_u64_e64 s1, 0, v[54:55]
	s_wait_loadcnt_dscnt 0x0
	v_cmp_ne_u64_e64 s2, 0, v[13:14]
	v_cmp_ne_u64_e64 s6, 0, v[52:53]
	v_lshlrev_b64_e32 v[9:10], 3, v[70:71]
	v_mov_b32_e32 v3, 0
	v_cmp_eq_u64_e64 s7, 0, v[66:67]
	v_cmp_ne_u32_e64 s3, 32, v1
	v_cmp_ne_u32_e64 s4, v1, v0
	v_lshrrev_b32_e32 v118, 5, v1
	s_wait_alu 0xfffd
	v_add_co_ci_u32_e64 v133, null, v49, v18, vcc_lo
	v_mov_b32_e32 v135, 0
	s_cmp_gt_i32 s12, 2
	s_mov_b32 s15, 0
	s_cselect_b32 s19, -1, 0
	s_mov_b32 s13, 0
	s_branch .LBB0_40
.LBB0_39:                               ;   in Loop: Header=BB0_40 Depth=1
	s_wait_alu 0xfffe
	s_or_b32 exec_lo, exec_lo, s9
	v_add_co_u32 v82, vcc_lo, v82, v68
	s_wait_alu 0xfffd
	v_add_co_ci_u32_e64 v83, null, 0, v83, vcc_lo
	v_add_co_u32 v38, vcc_lo, v38, 1
	s_wait_alu 0xfffd
	v_add_co_ci_u32_e64 v39, null, 0, v39, vcc_lo
	s_delay_alu instid0(VALU_DEP_3)
	v_cmp_ge_u64_e32 vcc_lo, v[82:83], v[7:8]
	v_add_co_u32 v5, s9, v5, v131
	s_wait_alu 0xf1ff
	v_add_co_ci_u32_e64 v6, null, 0, v6, s9
	s_or_b32 s13, vcc_lo, s13
	s_wait_alu 0xfffe
	s_and_not1_b32 exec_lo, exec_lo, s13
	s_cbranch_execz .LBB0_205
.LBB0_40:                               ; =>This Loop Header: Depth=1
                                        ;     Child Loop BB0_45 Depth 2
                                        ;     Child Loop BB0_64 Depth 2
	;; [unrolled: 1-line block ×5, first 2 shown]
                                        ;       Child Loop BB0_90 Depth 3
                                        ;       Child Loop BB0_109 Depth 3
	;; [unrolled: 1-line block ×3, first 2 shown]
                                        ;         Child Loop BB0_136 Depth 4
                                        ;       Child Loop BB0_151 Depth 3
                                        ;       Child Loop BB0_126 Depth 3
                                        ;     Child Loop BB0_167 Depth 2
                                        ;       Child Loop BB0_172 Depth 3
                                        ;     Child Loop BB0_193 Depth 2
	s_wait_loadcnt_dscnt 0x0
	flat_load_b32 v19, v[80:81] offset:-4
	v_sub_co_u32 v17, vcc_lo, v7, v82
	s_wait_alu 0xfffd
	v_sub_co_ci_u32_e64 v18, null, v8, v83, vcc_lo
	s_delay_alu instid0(VALU_DEP_1)
	v_cmp_lt_u64_e32 vcc_lo, v[68:69], v[17:18]
	s_wait_alu 0xfffd
	v_cndmask_b32_e32 v144, v17, v68, vcc_lo
	s_and_saveexec_b32 s10, s1
	s_cbranch_execz .LBB0_56
; %bb.41:                               ;   in Loop: Header=BB0_40 Depth=1
	v_add_co_u32 v17, vcc_lo, v15, 1
	s_wait_alu 0xfffd
	v_add_co_ci_u32_e64 v18, null, 0, v16, vcc_lo
	v_add_co_u32 v98, vcc_lo, v64, 8
	s_wait_alu 0xfffd
	v_add_co_ci_u32_e64 v99, null, 0, v65, vcc_lo
	s_mov_b32 s11, exec_lo
	v_cmpx_lt_u64_e64 v[98:99], v[17:18]
	s_cbranch_execz .LBB0_53
; %bb.42:                               ;   in Loop: Header=BB0_40 Depth=1
	s_mov_b32 s14, 0
	s_mov_b32 s23, 0
	v_cmp_eq_u32_e32 vcc_lo, 0, v135
                                        ; implicit-def: $sgpr20
                                        ; implicit-def: $sgpr21
                                        ; implicit-def: $sgpr22
	s_branch .LBB0_45
.LBB0_43:                               ;   in Loop: Header=BB0_45 Depth=2
	s_wait_alu 0xfffe
	s_or_b32 exec_lo, exec_lo, s28
	s_delay_alu instid0(SALU_CYCLE_1)
	s_and_not1_b32 s9, s22, exec_lo
	s_and_b32 s22, s26, exec_lo
	s_and_not1_b32 s21, s21, exec_lo
	s_and_b32 s25, s25, exec_lo
	s_wait_alu 0xfffe
	s_or_b32 s22, s9, s22
	s_or_b32 s21, s21, s25
.LBB0_44:                               ;   in Loop: Header=BB0_45 Depth=2
	s_wait_alu 0xfffe
	s_or_b32 exec_lo, exec_lo, s24
	s_delay_alu instid0(SALU_CYCLE_1)
	s_and_b32 s9, exec_lo, s21
	s_wait_alu 0xfffe
	s_or_b32 s14, s9, s14
	s_and_not1_b32 s9, s20, exec_lo
	s_and_b32 s20, s22, exec_lo
	s_wait_alu 0xfffe
	s_or_b32 s20, s9, s20
	s_and_not1_b32 exec_lo, exec_lo, s14
	s_cbranch_execz .LBB0_50
.LBB0_45:                               ;   Parent Loop BB0_40 Depth=1
                                        ; =>  This Inner Loop Header: Depth=2
	s_sleep 1
	s_wait_loadcnt_dscnt 0x0
	flat_load_b64 v[64:65], v[54:55] scope:SCOPE_DEV
	v_mov_b32_e32 v135, 1
	s_or_b32 s22, s22, exec_lo
	s_or_b32 s21, s21, exec_lo
                                        ; implicit-def: $vgpr16
	s_and_saveexec_b32 s24, vcc_lo
	s_cbranch_execz .LBB0_44
; %bb.46:                               ;   in Loop: Header=BB0_45 Depth=2
	s_wait_alu 0xfffe
	s_add_co_i32 s23, s23, 1
	s_mov_b32 s25, -1
	s_wait_alu 0xfffe
	s_cmp_lg_u32 s23, 0x2710
	s_mov_b32 s26, -1
	s_cselect_b32 s27, -1, 0
	s_cmp_eq_u32 s23, 0x2710
                                        ; implicit-def: $vgpr16
	s_cbranch_scc1 .LBB0_48
; %bb.47:                               ;   in Loop: Header=BB0_45 Depth=2
	v_mov_b32_e32 v135, 1
	s_wait_alu 0xfffe
	s_and_saveexec_b32 s28, s27
	s_cbranch_execz .LBB0_43
	s_branch .LBB0_49
.LBB0_48:                               ;   in Loop: Header=BB0_45 Depth=2
	s_trap 2
	ds_load_b64 v[98:99], v0
	s_wait_alu 0xfffe
	s_and_not1_b32 s23, s27, exec_lo
	s_mov_b32 s26, 0
	s_wait_storecnt 0x0
	s_wait_loadcnt_dscnt 0x0
	flat_load_b32 v16, v[98:99] scope:SCOPE_SYS
	s_wait_loadcnt_dscnt 0x0
	global_inv scope:SCOPE_SYS
	v_cmp_eq_u32_e64 s9, 0, v16
	s_and_b32 s9, s9, exec_lo
	s_wait_alu 0xfffe
	s_or_b32 s27, s23, s9
	s_mov_b32 s23, 0
	v_mov_b32_e32 v135, 1
	s_wait_alu 0xfffe
	s_and_saveexec_b32 s28, s27
	s_cbranch_execz .LBB0_43
.LBB0_49:                               ;   in Loop: Header=BB0_45 Depth=2
	s_wait_loadcnt_dscnt 0x0
	v_add_co_u32 v98, s9, v64, 8
	s_wait_alu 0xf1ff
	v_add_co_ci_u32_e64 v99, null, 0, v65, s9
	v_mov_b32_e32 v135, 0
	s_or_b32 s26, s26, exec_lo
	s_delay_alu instid0(VALU_DEP_2)
	v_cmp_ge_u64_e64 s9, v[98:99], v[17:18]
	s_or_not1_b32 s25, s9, exec_lo
	s_branch .LBB0_43
.LBB0_50:                               ;   in Loop: Header=BB0_40 Depth=1
	s_or_b32 exec_lo, exec_lo, s14
	s_wait_alu 0xfffe
	s_xor_b32 s9, s20, -1
	s_wait_alu 0xfffe
	s_and_saveexec_b32 s14, s9
	s_wait_alu 0xfffe
	s_xor_b32 s9, exec_lo, s14
	s_cbranch_execz .LBB0_52
; %bb.51:                               ;   in Loop: Header=BB0_40 Depth=1
	v_mov_b32_e32 v135, 1
	s_wait_storecnt 0x0
	s_wait_loadcnt_dscnt 0x0
	ds_store_b32 v0, v16
	s_trap 2
.LBB0_52:                               ;   in Loop: Header=BB0_40 Depth=1
	s_wait_alu 0xfffe
	s_or_b32 exec_lo, exec_lo, s9
.LBB0_53:                               ;   in Loop: Header=BB0_40 Depth=1
	s_wait_alu 0xfffe
	s_or_b32 exec_lo, exec_lo, s11
	s_and_saveexec_b32 s9, s2
	s_cbranch_execz .LBB0_55
; %bb.54:                               ;   in Loop: Header=BB0_40 Depth=1
	v_and_b32_e32 v66, 0x7ffffff8, v15
	v_and_b32_e32 v20, 7, v15
	s_delay_alu instid0(VALU_DEP_2) | instskip(NEXT) | instid1(VALU_DEP_2)
	v_cmp_eq_u64_e32 vcc_lo, 0x7ffffff8, v[66:67]
	v_mad_co_u64_u32 v[98:99], null, v20, 24, v[13:14]
	s_wait_alu 0xfffd
	v_cndmask_b32_e64 v16, v144, s18, vcc_lo
	s_delay_alu instid0(VALU_DEP_1) | instskip(NEXT) | instid1(VALU_DEP_1)
	v_lshlrev_b32_e32 v15, 4, v16
	v_ashrrev_i32_e32 v16, 31, v15
	s_wait_loadcnt 0x0
	s_wait_storecnt 0x0
	flat_store_b64 v[98:99], v[15:16] offset:8 scope:SCOPE_SYS
	s_wait_storecnt 0x0
.LBB0_55:                               ;   in Loop: Header=BB0_40 Depth=1
	s_wait_alu 0xfffe
	s_or_b32 exec_lo, exec_lo, s9
	v_dual_mov_b32 v15, v17 :: v_dual_mov_b32 v16, v18
.LBB0_56:                               ;   in Loop: Header=BB0_40 Depth=1
	s_wait_alu 0xfffe
	s_or_b32 exec_lo, exec_lo, s10
	s_and_saveexec_b32 s9, s3
	s_cbranch_execz .LBB0_75
; %bb.57:                               ;   in Loop: Header=BB0_40 Depth=1
	s_and_saveexec_b32 s10, s4
	s_wait_alu 0xfffe
	s_xor_b32 s10, exec_lo, s10
	s_cbranch_execz .LBB0_72
; %bb.58:                               ;   in Loop: Header=BB0_40 Depth=1
	s_and_saveexec_b32 s11, s5
	s_cbranch_execz .LBB0_71
; %bb.59:                               ;   in Loop: Header=BB0_40 Depth=1
	s_mov_b32 s20, exec_lo
	s_mov_b32 s14, exec_lo
	s_wait_alu 0xfffe
	v_mbcnt_lo_u32_b32 v17, s20, 0
	s_wait_storecnt 0x0
	s_wait_loadcnt_dscnt 0x0
	global_inv scope:SCOPE_DEV
	v_cmpx_eq_u32_e32 0, v17
	s_cbranch_execz .LBB0_61
; %bb.60:                               ;   in Loop: Header=BB0_40 Depth=1
	s_bcnt1_i32_b32 s20, s20
	s_wait_alu 0xfffe
	v_mov_b32_e32 v66, s20
	s_wait_loadcnt 0x0
	ds_add_u64 v0, v[66:67]
	s_trap 2
.LBB0_61:                               ;   in Loop: Header=BB0_40 Depth=1
	s_or_b32 exec_lo, exec_lo, s14
	s_trap 2
	ds_load_b64 v[17:18], v0
	s_wait_dscnt 0x0
	global_inv scope:SCOPE_SE
	v_add_co_u32 v2, vcc_lo, v2, v118
	s_wait_alu 0xfffd
	v_add_co_ci_u32_e64 v3, null, 0, v3, vcc_lo
	s_mov_b32 s14, exec_lo
	v_cmpx_lt_u64_e64 v[17:18], v[2:3]
	s_cbranch_execz .LBB0_70
; %bb.62:                               ;   in Loop: Header=BB0_40 Depth=1
	s_mov_b32 s20, 0
	s_mov_b32 s23, 0
                                        ; implicit-def: $sgpr21
                                        ; implicit-def: $sgpr22
	s_branch .LBB0_64
.LBB0_63:                               ;   in Loop: Header=BB0_64 Depth=2
	s_wait_alu 0xfffe
	s_or_b32 exec_lo, exec_lo, s25
	s_delay_alu instid0(SALU_CYCLE_1)
	s_and_b32 s24, exec_lo, s26
	s_wait_alu 0xfffe
	s_or_b32 s20, s24, s20
	s_and_not1_b32 s21, s21, exec_lo
	s_and_b32 s24, s22, exec_lo
	s_wait_alu 0xfffe
	s_or_b32 s21, s21, s24
	s_and_not1_b32 exec_lo, exec_lo, s20
	s_cbranch_execz .LBB0_68
.LBB0_64:                               ;   Parent Loop BB0_40 Depth=1
                                        ; =>  This Inner Loop Header: Depth=2
	s_wait_alu 0xfffe
	s_add_co_i32 s23, s23, 1
	s_wait_alu 0xfffe
	s_cmp_lg_u32 s23, 0x2710
	s_cselect_b32 s24, -1, 0
	s_wait_alu 0xfffe
	s_and_b32 vcc_lo, exec_lo, s24
	s_wait_alu 0xfffe
	s_cbranch_vccz .LBB0_66
; %bb.65:                               ;   in Loop: Header=BB0_64 Depth=2
	s_mov_b32 s26, -1
	s_or_b32 s22, s22, exec_lo
	s_and_saveexec_b32 s25, s24
	s_cbranch_execz .LBB0_63
	s_branch .LBB0_67
.LBB0_66:                               ;   in Loop: Header=BB0_64 Depth=2
	s_trap 2
	ds_load_b64 v[17:18], v0
	s_and_not1_b32 s24, s24, exec_lo
	s_mov_b32 s23, 0
	s_wait_loadcnt_dscnt 0x0
	flat_load_b32 v17, v[17:18] scope:SCOPE_SYS
	s_wait_loadcnt_dscnt 0x0
	global_inv scope:SCOPE_SYS
	v_cmp_eq_u32_e32 vcc_lo, 0, v17
	s_and_b32 s25, vcc_lo, exec_lo
	s_wait_alu 0xfffe
	s_or_b32 s24, s24, s25
	s_mov_b32 s26, -1
	s_or_b32 s22, s22, exec_lo
	s_wait_alu 0xfffe
	s_and_saveexec_b32 s25, s24
	s_cbranch_execz .LBB0_63
.LBB0_67:                               ;   in Loop: Header=BB0_64 Depth=2
	s_sleep 1
	s_trap 2
	ds_load_b64 v[17:18], v0
	s_wait_dscnt 0x0
	global_inv scope:SCOPE_SE
	s_wait_alu 0xfffe
	s_and_not1_b32 s22, s22, exec_lo
	v_cmp_ge_u64_e32 vcc_lo, v[17:18], v[2:3]
	s_or_not1_b32 s26, vcc_lo, exec_lo
	s_branch .LBB0_63
.LBB0_68:                               ;   in Loop: Header=BB0_40 Depth=1
	s_or_b32 exec_lo, exec_lo, s20
	s_wait_alu 0xfffe
	s_and_saveexec_b32 s20, s21
	s_wait_alu 0xfffe
	s_xor_b32 s20, exec_lo, s20
	s_cbranch_execz .LBB0_70
; %bb.69:                               ;   in Loop: Header=BB0_40 Depth=1
	ds_store_b32 v0, v134
	s_trap 2
.LBB0_70:                               ;   in Loop: Header=BB0_40 Depth=1
	s_wait_alu 0xfffe
	s_or_b32 exec_lo, exec_lo, s14
	;;#ASMSTART
	s_wakeup
	;;#ASMEND
.LBB0_71:                               ;   in Loop: Header=BB0_40 Depth=1
	s_wait_alu 0xfffe
	s_or_b32 exec_lo, exec_lo, s11
.LBB0_72:                               ;   in Loop: Header=BB0_40 Depth=1
	s_wait_alu 0xfffe
	s_and_not1_saveexec_b32 s10, s10
	s_cbranch_execz .LBB0_74
; %bb.73:                               ;   in Loop: Header=BB0_40 Depth=1
	s_wait_storecnt 0x0
	s_wait_loadcnt_dscnt 0x0
	global_inv scope:SCOPE_DEV
	s_barrier_signal -1
	s_barrier_wait -1
.LBB0_74:                               ;   in Loop: Header=BB0_40 Depth=1
	s_wait_alu 0xfffe
	s_or_b32 exec_lo, exec_lo, s10
.LBB0_75:                               ;   in Loop: Header=BB0_40 Depth=1
	s_wait_alu 0xfffe
	s_or_b32 exec_lo, exec_lo, s9
	v_sub_nc_u32_e32 v145, v144, v4
	v_dual_mov_b32 v98, v4 :: v_dual_and_b32 v103, 7, v21
	v_add_nc_u32_e32 v18, 1, v21
	s_delay_alu instid0(VALU_DEP_3)
	v_cmp_lt_i32_e64 s9, 0, v145
	s_and_saveexec_b32 s11, s9
	s_cbranch_execz .LBB0_79
; %bb.76:                               ;   in Loop: Header=BB0_40 Depth=1
	v_mul_lo_u32 v101, v103, s18
	s_wait_loadcnt_dscnt 0x0
	v_ashrrev_i32_e32 v17, 31, v19
	v_mad_co_u64_u32 v[99:100], null, v9, v19, v[5:6]
	v_mul_lo_u32 v98, v10, v19
	v_mov_b32_e32 v66, v145
	s_delay_alu instid0(VALU_DEP_4) | instskip(SKIP_2) | instid1(VALU_DEP_1)
	v_mul_lo_u32 v17, v9, v17
	s_mov_b32 s14, 0
	v_ashrrev_i32_e32 v102, 31, v101
	v_lshlrev_b64_e32 v[19:20], 4, v[101:102]
	s_delay_alu instid0(VALU_DEP_3) | instskip(SKIP_1) | instid1(VALU_DEP_3)
	v_add3_u32 v100, v98, v100, v17
	v_mov_b32_e32 v98, v4
	v_add_co_u32 v101, vcc_lo, v132, v19
	s_wait_alu 0xfffd
	s_delay_alu instid0(VALU_DEP_4)
	v_add_co_ci_u32_e64 v102, null, v133, v20, vcc_lo
.LBB0_77:                               ;   Parent Loop BB0_40 Depth=1
                                        ; =>  This Inner Loop Header: Depth=2
	global_load_b64 v[112:113], v[99:100], off th:TH_LOAD_NT
	v_mov_b32_e32 v20, v18
	v_sub_nc_u32_e32 v66, v66, v1
	v_add_nc_u32_e32 v98, v98, v1
	v_add_co_u32 v99, vcc_lo, v99, v86
	s_wait_alu 0xfffd
	v_add_co_ci_u32_e64 v100, null, v100, v87, vcc_lo
	v_cmp_gt_i32_e32 vcc_lo, 1, v66
	s_wait_alu 0xfffe
	s_or_b32 s14, vcc_lo, s14
	s_wait_loadcnt 0x0
	v_mov_b32_e32 v17, v112
	v_mov_b32_e32 v19, v113
	global_store_b128 v[101:102], v[17:20], off
	v_add_co_u32 v101, s10, v101, v96
	s_wait_alu 0xf1ff
	v_add_co_ci_u32_e64 v102, null, v102, v97, s10
	s_wait_alu 0xfffe
	s_and_not1_b32 exec_lo, exec_lo, s14
	s_cbranch_execnz .LBB0_77
; %bb.78:                               ;   in Loop: Header=BB0_40 Depth=1
	s_or_b32 exec_lo, exec_lo, s14
.LBB0_79:                               ;   in Loop: Header=BB0_40 Depth=1
	s_wait_alu 0xfffe
	s_or_b32 exec_lo, exec_lo, s11
	v_and_b32_e32 v66, 0x7ffffff8, v21
	v_cmp_gt_i32_e64 s10, s18, v98
	s_delay_alu instid0(VALU_DEP_2)
	v_cmp_eq_u64_e32 vcc_lo, 0x7ffffff8, v[66:67]
	s_and_b32 s10, vcc_lo, s10
	s_wait_alu 0xfffe
	s_and_saveexec_b32 s11, s10
	s_cbranch_execz .LBB0_82
; %bb.80:                               ;   in Loop: Header=BB0_40 Depth=1
	s_wait_loadcnt_dscnt 0x0
	v_mul_lo_u32 v19, v103, s18
	v_ashrrev_i32_e32 v99, 31, v98
	v_mov_b32_e32 v17, v67
	s_mov_b32 s14, 0
	s_delay_alu instid0(VALU_DEP_2) | instskip(NEXT) | instid1(VALU_DEP_4)
	v_lshlrev_b64_e32 v[99:100], 4, v[98:99]
	v_ashrrev_i32_e32 v20, 31, v19
	s_delay_alu instid0(VALU_DEP_1) | instskip(NEXT) | instid1(VALU_DEP_1)
	v_lshlrev_b64_e32 v[19:20], 4, v[19:20]
	v_add_co_u32 v19, vcc_lo, v99, v19
	s_wait_alu 0xfffd
	s_delay_alu instid0(VALU_DEP_2) | instskip(NEXT) | instid1(VALU_DEP_2)
	v_add_co_ci_u32_e64 v20, null, v100, v20, vcc_lo
	v_add_co_u32 v99, vcc_lo, v48, v19
	s_wait_alu 0xfffd
	s_delay_alu instid0(VALU_DEP_2)
	v_add_co_ci_u32_e64 v100, null, v49, v20, vcc_lo
.LBB0_81:                               ;   Parent Loop BB0_40 Depth=1
                                        ; =>  This Inner Loop Header: Depth=2
	v_dual_mov_b32 v19, v17 :: v_dual_add_nc_u32 v98, v98, v1
	v_mov_b32_e32 v20, v18
	s_delay_alu instid0(VALU_DEP_2)
	v_cmp_le_i32_e32 vcc_lo, s18, v98
	global_store_b128 v[99:100], v[17:20], off
	v_add_co_u32 v99, s10, v99, v96
	s_wait_alu 0xf1ff
	v_add_co_ci_u32_e64 v100, null, v100, v97, s10
	s_wait_alu 0xfffe
	s_or_b32 s14, vcc_lo, s14
	s_wait_alu 0xfffe
	s_and_not1_b32 exec_lo, exec_lo, s14
	s_cbranch_execnz .LBB0_81
.LBB0_82:                               ;   in Loop: Header=BB0_40 Depth=1
	s_wait_alu 0xfffe
	s_or_b32 exec_lo, exec_lo, s11
	v_add_co_u32 v17, vcc_lo, v82, v25
	s_wait_alu 0xfffd
	v_add_co_ci_u32_e64 v18, null, v83, v26, vcc_lo
	v_add_co_u32 v100, vcc_lo, v21, 1
	s_wait_alu 0xfffd
	v_add_co_ci_u32_e64 v101, null, 0, v22, vcc_lo
	s_delay_alu instid0(VALU_DEP_3)
	v_lshlrev_b64_e32 v[98:99], 3, v[17:18]
	s_and_not1_b32 vcc_lo, exec_lo, s19
	s_wait_alu 0xfffe
	s_cbranch_vccnz .LBB0_162
; %bb.83:                               ;   in Loop: Header=BB0_40 Depth=1
	s_delay_alu instid0(VALU_DEP_1)
	v_add_co_u32 v146, vcc_lo, v119, v98
	s_wait_alu 0xfffd
	v_add_co_ci_u32_e64 v147, null, v128, v99, vcc_lo
	v_add_nc_u16 v148, v21, 1
	s_mov_b32 s20, 2
	s_branch .LBB0_85
.LBB0_84:                               ;   in Loop: Header=BB0_85 Depth=2
	s_wait_alu 0xfffe
	s_or_b32 exec_lo, exec_lo, s11
	v_add_co_u32 v38, vcc_lo, v38, 1
	s_wait_alu 0xfffd
	v_add_co_ci_u32_e64 v39, null, 0, v39, vcc_lo
	v_add_co_u32 v100, vcc_lo, v100, 1
	s_wait_alu 0xfffd
	v_add_co_ci_u32_e64 v101, null, 0, v101, vcc_lo
	v_add_nc_u16 v148, v148, 1
	s_add_co_i32 s20, s20, 1
	s_wait_alu 0xfffe
	s_cmp_eq_u32 s20, s12
	s_cbranch_scc1 .LBB0_162
.LBB0_85:                               ;   Parent Loop BB0_40 Depth=1
                                        ; =>  This Loop Header: Depth=2
                                        ;       Child Loop BB0_90 Depth 3
                                        ;       Child Loop BB0_109 Depth 3
	;; [unrolled: 1-line block ×3, first 2 shown]
                                        ;         Child Loop BB0_136 Depth 4
                                        ;       Child Loop BB0_151 Depth 3
                                        ;       Child Loop BB0_126 Depth 3
	s_wait_alu 0xfffe
	s_sub_co_i32 s14, s12, s20
	s_wait_alu 0xfffe
	s_lshl_b64 s[10:11], s[14:15], 2
	s_wait_alu 0xfffe
	v_add_co_u32 v17, vcc_lo, v23, s10
	s_wait_alu 0xfffd
	v_add_co_ci_u32_e64 v18, null, s11, v24, vcc_lo
	s_wait_loadcnt_dscnt 0x0
	flat_load_b32 v19, v[17:18]
	s_and_saveexec_b32 s11, s1
	s_cbranch_execz .LBB0_101
; %bb.86:                               ;   in Loop: Header=BB0_85 Depth=2
	v_add_co_u32 v17, vcc_lo, v15, 1
	s_wait_alu 0xfffd
	v_add_co_ci_u32_e64 v18, null, 0, v16, vcc_lo
	v_add_co_u32 v20, vcc_lo, v64, 8
	s_wait_alu 0xfffd
	v_add_co_ci_u32_e64 v21, null, 0, v65, vcc_lo
	s_mov_b32 s14, exec_lo
	v_cmpx_lt_u64_e64 v[20:21], v[17:18]
	s_cbranch_execz .LBB0_98
; %bb.87:                               ;   in Loop: Header=BB0_85 Depth=2
	s_mov_b32 s21, 0
	s_mov_b32 s25, 0
	v_cmp_eq_u32_e32 vcc_lo, 0, v135
                                        ; implicit-def: $sgpr22
                                        ; implicit-def: $sgpr23
                                        ; implicit-def: $sgpr24
	s_branch .LBB0_90
.LBB0_88:                               ;   in Loop: Header=BB0_90 Depth=3
	s_wait_alu 0xfffe
	s_or_b32 exec_lo, exec_lo, s40
	s_delay_alu instid0(SALU_CYCLE_1)
	s_and_not1_b32 s10, s24, exec_lo
	s_and_b32 s24, s28, exec_lo
	s_and_not1_b32 s23, s23, exec_lo
	s_and_b32 s27, s27, exec_lo
	s_wait_alu 0xfffe
	s_or_b32 s24, s10, s24
	s_or_b32 s23, s23, s27
.LBB0_89:                               ;   in Loop: Header=BB0_90 Depth=3
	s_wait_alu 0xfffe
	s_or_b32 exec_lo, exec_lo, s26
	s_delay_alu instid0(SALU_CYCLE_1)
	s_and_b32 s10, exec_lo, s23
	s_wait_alu 0xfffe
	s_or_b32 s21, s10, s21
	s_and_not1_b32 s10, s22, exec_lo
	s_and_b32 s22, s24, exec_lo
	s_wait_alu 0xfffe
	s_or_b32 s22, s10, s22
	s_and_not1_b32 exec_lo, exec_lo, s21
	s_cbranch_execz .LBB0_95
.LBB0_90:                               ;   Parent Loop BB0_40 Depth=1
                                        ;     Parent Loop BB0_85 Depth=2
                                        ; =>    This Inner Loop Header: Depth=3
	s_sleep 1
	s_wait_loadcnt_dscnt 0x0
	flat_load_b64 v[64:65], v[54:55] scope:SCOPE_DEV
	v_mov_b32_e32 v135, 1
	s_or_b32 s24, s24, exec_lo
	s_or_b32 s23, s23, exec_lo
                                        ; implicit-def: $vgpr16
	s_and_saveexec_b32 s26, vcc_lo
	s_cbranch_execz .LBB0_89
; %bb.91:                               ;   in Loop: Header=BB0_90 Depth=3
	s_wait_alu 0xfffe
	s_add_co_i32 s25, s25, 1
	s_mov_b32 s27, -1
	s_wait_alu 0xfffe
	s_cmp_lg_u32 s25, 0x2710
	s_mov_b32 s28, -1
	s_cselect_b32 s29, -1, 0
	s_cmp_eq_u32 s25, 0x2710
                                        ; implicit-def: $vgpr16
	s_cbranch_scc1 .LBB0_93
; %bb.92:                               ;   in Loop: Header=BB0_90 Depth=3
	v_mov_b32_e32 v135, 1
	s_wait_alu 0xfffe
	s_and_saveexec_b32 s40, s29
	s_cbranch_execz .LBB0_88
	s_branch .LBB0_94
.LBB0_93:                               ;   in Loop: Header=BB0_90 Depth=3
	s_trap 2
	ds_load_b64 v[20:21], v0
	s_wait_alu 0xfffe
	s_and_not1_b32 s25, s29, exec_lo
	s_mov_b32 s28, 0
	s_wait_storecnt 0x0
	s_wait_loadcnt_dscnt 0x0
	flat_load_b32 v16, v[20:21] scope:SCOPE_SYS
	s_wait_loadcnt_dscnt 0x0
	global_inv scope:SCOPE_SYS
	v_cmp_eq_u32_e64 s10, 0, v16
	s_and_b32 s10, s10, exec_lo
	s_wait_alu 0xfffe
	s_or_b32 s29, s25, s10
	s_mov_b32 s25, 0
	v_mov_b32_e32 v135, 1
	s_wait_alu 0xfffe
	s_and_saveexec_b32 s40, s29
	s_cbranch_execz .LBB0_88
.LBB0_94:                               ;   in Loop: Header=BB0_90 Depth=3
	s_wait_loadcnt_dscnt 0x0
	v_add_co_u32 v20, s10, v64, 8
	s_wait_alu 0xf1ff
	v_add_co_ci_u32_e64 v21, null, 0, v65, s10
	v_mov_b32_e32 v135, 0
	s_or_b32 s28, s28, exec_lo
	s_delay_alu instid0(VALU_DEP_2)
	v_cmp_ge_u64_e64 s10, v[20:21], v[17:18]
	s_or_not1_b32 s27, s10, exec_lo
	s_branch .LBB0_88
.LBB0_95:                               ;   in Loop: Header=BB0_85 Depth=2
	s_or_b32 exec_lo, exec_lo, s21
	s_wait_alu 0xfffe
	s_xor_b32 s10, s22, -1
	s_wait_alu 0xfffe
	s_and_saveexec_b32 s21, s10
	s_wait_alu 0xfffe
	s_xor_b32 s10, exec_lo, s21
	s_cbranch_execz .LBB0_97
; %bb.96:                               ;   in Loop: Header=BB0_85 Depth=2
	v_mov_b32_e32 v135, 1
	s_wait_storecnt 0x0
	s_wait_loadcnt_dscnt 0x0
	ds_store_b32 v0, v16
	s_trap 2
.LBB0_97:                               ;   in Loop: Header=BB0_85 Depth=2
	s_wait_alu 0xfffe
	s_or_b32 exec_lo, exec_lo, s10
.LBB0_98:                               ;   in Loop: Header=BB0_85 Depth=2
	s_wait_alu 0xfffe
	s_or_b32 exec_lo, exec_lo, s14
	s_and_saveexec_b32 s10, s2
	s_cbranch_execz .LBB0_100
; %bb.99:                               ;   in Loop: Header=BB0_85 Depth=2
	v_and_b32_e32 v66, 0x7ffffff8, v15
	v_and_b32_e32 v20, 7, v15
	s_delay_alu instid0(VALU_DEP_2) | instskip(NEXT) | instid1(VALU_DEP_2)
	v_cmp_eq_u64_e32 vcc_lo, 0x7ffffff8, v[66:67]
	v_mad_co_u64_u32 v[20:21], null, v20, 24, v[13:14]
	s_wait_alu 0xfffd
	v_cndmask_b32_e64 v16, v144, s18, vcc_lo
	s_delay_alu instid0(VALU_DEP_1) | instskip(NEXT) | instid1(VALU_DEP_1)
	v_lshlrev_b32_e32 v15, 4, v16
	v_ashrrev_i32_e32 v16, 31, v15
	s_wait_loadcnt 0x0
	s_wait_storecnt 0x0
	flat_store_b64 v[20:21], v[15:16] offset:8 scope:SCOPE_SYS
	s_wait_storecnt 0x0
.LBB0_100:                              ;   in Loop: Header=BB0_85 Depth=2
	s_wait_alu 0xfffe
	s_or_b32 exec_lo, exec_lo, s10
	v_dual_mov_b32 v15, v17 :: v_dual_mov_b32 v16, v18
.LBB0_101:                              ;   in Loop: Header=BB0_85 Depth=2
	s_wait_alu 0xfffe
	s_or_b32 exec_lo, exec_lo, s11
	s_and_saveexec_b32 s10, s3
	s_cbranch_execz .LBB0_120
; %bb.102:                              ;   in Loop: Header=BB0_85 Depth=2
	s_and_saveexec_b32 s11, s4
	s_wait_alu 0xfffe
	s_xor_b32 s11, exec_lo, s11
	s_cbranch_execz .LBB0_117
; %bb.103:                              ;   in Loop: Header=BB0_85 Depth=2
	s_and_saveexec_b32 s14, s5
	s_cbranch_execz .LBB0_116
; %bb.104:                              ;   in Loop: Header=BB0_85 Depth=2
	s_mov_b32 s22, exec_lo
	s_mov_b32 s21, exec_lo
	s_wait_alu 0xfffe
	v_mbcnt_lo_u32_b32 v17, s22, 0
	s_wait_storecnt 0x0
	s_wait_loadcnt_dscnt 0x0
	global_inv scope:SCOPE_DEV
	v_cmpx_eq_u32_e32 0, v17
	s_cbranch_execz .LBB0_106
; %bb.105:                              ;   in Loop: Header=BB0_85 Depth=2
	s_bcnt1_i32_b32 s22, s22
	s_wait_alu 0xfffe
	v_mov_b32_e32 v66, s22
	s_wait_loadcnt 0x0
	ds_add_u64 v0, v[66:67]
	s_trap 2
.LBB0_106:                              ;   in Loop: Header=BB0_85 Depth=2
	s_or_b32 exec_lo, exec_lo, s21
	s_trap 2
	ds_load_b64 v[17:18], v0
	s_wait_dscnt 0x0
	global_inv scope:SCOPE_SE
	v_add_co_u32 v2, vcc_lo, v2, v118
	s_wait_alu 0xfffd
	v_add_co_ci_u32_e64 v3, null, 0, v3, vcc_lo
	s_mov_b32 s21, exec_lo
	v_cmpx_lt_u64_e64 v[17:18], v[2:3]
	s_cbranch_execz .LBB0_115
; %bb.107:                              ;   in Loop: Header=BB0_85 Depth=2
	s_mov_b32 s22, 0
	s_mov_b32 s25, 0
                                        ; implicit-def: $sgpr23
                                        ; implicit-def: $sgpr24
	s_branch .LBB0_109
.LBB0_108:                              ;   in Loop: Header=BB0_109 Depth=3
	s_wait_alu 0xfffe
	s_or_b32 exec_lo, exec_lo, s27
	s_delay_alu instid0(SALU_CYCLE_1)
	s_and_b32 s26, exec_lo, s28
	s_wait_alu 0xfffe
	s_or_b32 s22, s26, s22
	s_and_not1_b32 s23, s23, exec_lo
	s_and_b32 s26, s24, exec_lo
	s_wait_alu 0xfffe
	s_or_b32 s23, s23, s26
	s_and_not1_b32 exec_lo, exec_lo, s22
	s_cbranch_execz .LBB0_113
.LBB0_109:                              ;   Parent Loop BB0_40 Depth=1
                                        ;     Parent Loop BB0_85 Depth=2
                                        ; =>    This Inner Loop Header: Depth=3
	s_wait_alu 0xfffe
	s_add_co_i32 s25, s25, 1
	s_wait_alu 0xfffe
	s_cmp_lg_u32 s25, 0x2710
	s_cselect_b32 s26, -1, 0
	s_wait_alu 0xfffe
	s_and_b32 vcc_lo, exec_lo, s26
	s_wait_alu 0xfffe
	s_cbranch_vccz .LBB0_111
; %bb.110:                              ;   in Loop: Header=BB0_109 Depth=3
	s_mov_b32 s28, -1
	s_or_b32 s24, s24, exec_lo
	s_and_saveexec_b32 s27, s26
	s_cbranch_execz .LBB0_108
	s_branch .LBB0_112
.LBB0_111:                              ;   in Loop: Header=BB0_109 Depth=3
	s_trap 2
	ds_load_b64 v[17:18], v0
	s_and_not1_b32 s26, s26, exec_lo
	s_mov_b32 s25, 0
	s_wait_loadcnt_dscnt 0x0
	flat_load_b32 v17, v[17:18] scope:SCOPE_SYS
	s_wait_loadcnt_dscnt 0x0
	global_inv scope:SCOPE_SYS
	v_cmp_eq_u32_e32 vcc_lo, 0, v17
	s_and_b32 s27, vcc_lo, exec_lo
	s_wait_alu 0xfffe
	s_or_b32 s26, s26, s27
	s_mov_b32 s28, -1
	s_or_b32 s24, s24, exec_lo
	s_wait_alu 0xfffe
	s_and_saveexec_b32 s27, s26
	s_cbranch_execz .LBB0_108
.LBB0_112:                              ;   in Loop: Header=BB0_109 Depth=3
	s_sleep 1
	s_trap 2
	ds_load_b64 v[17:18], v0
	s_wait_dscnt 0x0
	global_inv scope:SCOPE_SE
	s_wait_alu 0xfffe
	s_and_not1_b32 s24, s24, exec_lo
	v_cmp_ge_u64_e32 vcc_lo, v[17:18], v[2:3]
	s_or_not1_b32 s28, vcc_lo, exec_lo
	s_branch .LBB0_108
.LBB0_113:                              ;   in Loop: Header=BB0_85 Depth=2
	s_or_b32 exec_lo, exec_lo, s22
	s_wait_alu 0xfffe
	s_and_saveexec_b32 s22, s23
	s_wait_alu 0xfffe
	s_xor_b32 s22, exec_lo, s22
	s_cbranch_execz .LBB0_115
; %bb.114:                              ;   in Loop: Header=BB0_85 Depth=2
	ds_store_b32 v0, v134
	s_trap 2
.LBB0_115:                              ;   in Loop: Header=BB0_85 Depth=2
	s_wait_alu 0xfffe
	s_or_b32 exec_lo, exec_lo, s21
	;;#ASMSTART
	s_wakeup
	;;#ASMEND
.LBB0_116:                              ;   in Loop: Header=BB0_85 Depth=2
	s_wait_alu 0xfffe
	s_or_b32 exec_lo, exec_lo, s14
.LBB0_117:                              ;   in Loop: Header=BB0_85 Depth=2
	s_wait_alu 0xfffe
	s_and_not1_saveexec_b32 s11, s11
	s_cbranch_execz .LBB0_119
; %bb.118:                              ;   in Loop: Header=BB0_85 Depth=2
	s_wait_storecnt 0x0
	s_wait_loadcnt_dscnt 0x0
	global_inv scope:SCOPE_DEV
	s_barrier_signal -1
	s_barrier_wait -1
.LBB0_119:                              ;   in Loop: Header=BB0_85 Depth=2
	s_wait_alu 0xfffe
	s_or_b32 exec_lo, exec_lo, s11
.LBB0_120:                              ;   in Loop: Header=BB0_85 Depth=2
	s_wait_alu 0xfffe
	s_or_b32 exec_lo, exec_lo, s10
	v_add_nc_u32_e32 v18, 1, v100
	v_mov_b32_e32 v66, v4
	s_and_saveexec_b32 s14, s9
	s_cbranch_execnz .LBB0_127
; %bb.121:                              ;   in Loop: Header=BB0_85 Depth=2
	s_wait_alu 0xfffe
	s_or_b32 exec_lo, exec_lo, s14
	s_and_saveexec_b32 s10, s3
	s_cbranch_execnz .LBB0_144
.LBB0_122:                              ;   in Loop: Header=BB0_85 Depth=2
	s_wait_alu 0xfffe
	s_or_b32 exec_lo, exec_lo, s10
	s_and_saveexec_b32 s10, s6
	s_cbranch_execz .LBB0_124
.LBB0_123:                              ;   in Loop: Header=BB0_85 Depth=2
	v_add_co_u32 v50, vcc_lo, v50, 1
	s_wait_alu 0xfffd
	v_add_co_ci_u32_e64 v51, null, 0, v51, vcc_lo
	global_wb scope:SCOPE_SYS
	s_wait_storecnt 0x0
	s_wait_loadcnt_dscnt 0x0
	flat_store_b64 v[52:53], v[50:51] scope:SCOPE_SYS
.LBB0_124:                              ;   in Loop: Header=BB0_85 Depth=2
	s_wait_alu 0xfffe
	s_or_b32 exec_lo, exec_lo, s10
	s_wait_loadcnt_dscnt 0x0
	v_dual_mov_b32 v20, v67 :: v_dual_and_b32 v19, 0x7ffffff8, v100
	v_cmp_gt_i32_e64 s10, s18, v66
	s_delay_alu instid0(VALU_DEP_2)
	v_cmp_eq_u64_e32 vcc_lo, 0x7ffffff8, v[19:20]
	s_and_b32 s10, vcc_lo, s10
	s_wait_alu 0xfffe
	s_and_saveexec_b32 s11, s10
	s_cbranch_execz .LBB0_84
; %bb.125:                              ;   in Loop: Header=BB0_85 Depth=2
	v_and_b32_e32 v17, 7, v148
	v_ashrrev_i32_e32 v22, 31, v66
	v_mov_b32_e32 v21, v66
	s_mov_b32 s14, 0
	s_delay_alu instid0(VALU_DEP_3) | instskip(SKIP_1) | instid1(VALU_DEP_3)
	v_mul_lo_u32 v19, s18, v17
	v_mov_b32_e32 v17, v67
	v_lshlrev_b64_e32 v[21:22], 4, v[21:22]
	s_delay_alu instid0(VALU_DEP_3) | instskip(NEXT) | instid1(VALU_DEP_1)
	v_ashrrev_i32_e32 v20, 31, v19
	v_lshlrev_b64_e32 v[19:20], 4, v[19:20]
	s_delay_alu instid0(VALU_DEP_1) | instskip(SKIP_1) | instid1(VALU_DEP_2)
	v_add_co_u32 v19, vcc_lo, v21, v19
	s_wait_alu 0xfffd
	v_add_co_ci_u32_e64 v20, null, v22, v20, vcc_lo
	s_delay_alu instid0(VALU_DEP_2) | instskip(SKIP_1) | instid1(VALU_DEP_2)
	v_add_co_u32 v21, vcc_lo, v48, v19
	s_wait_alu 0xfffd
	v_add_co_ci_u32_e64 v22, null, v49, v20, vcc_lo
.LBB0_126:                              ;   Parent Loop BB0_40 Depth=1
                                        ;     Parent Loop BB0_85 Depth=2
                                        ; =>    This Inner Loop Header: Depth=3
	v_dual_mov_b32 v19, v17 :: v_dual_add_nc_u32 v66, v66, v1
	v_mov_b32_e32 v20, v18
	s_delay_alu instid0(VALU_DEP_2)
	v_cmp_le_i32_e32 vcc_lo, s18, v66
	global_store_b128 v[21:22], v[17:20], off
	v_add_co_u32 v21, s10, v21, v96
	s_wait_alu 0xf1ff
	v_add_co_ci_u32_e64 v22, null, v22, v97, s10
	s_wait_alu 0xfffe
	s_or_b32 s14, vcc_lo, s14
	s_wait_alu 0xfffe
	s_and_not1_b32 exec_lo, exec_lo, s14
	s_cbranch_execnz .LBB0_126
	s_branch .LBB0_84
.LBB0_127:                              ;   in Loop: Header=BB0_85 Depth=2
	s_wait_loadcnt_dscnt 0x0
	v_ashrrev_i32_e32 v17, 31, v19
	v_dual_mov_b32 v162, v145 :: v_dual_and_b32 v21, 7, v38
	v_dual_mov_b32 v163, v135 :: v_dual_and_b32 v66, 7, v100
	v_mul_lo_u32 v22, v71, v19
	v_mad_co_u64_u32 v[19:20], null, v70, v19, 0
	v_mul_lo_u32 v17, v70, v17
	v_mul_lo_u32 v21, v21, s18
	;; [unrolled: 1-line block ×3, first 2 shown]
	v_dual_mov_b32 v66, v4 :: v_dual_add_nc_u32 v149, 1, v38
	s_mov_b32 s21, 0
	s_delay_alu instid0(VALU_DEP_4) | instskip(NEXT) | instid1(VALU_DEP_4)
	v_add3_u32 v20, v20, v17, v22
	v_ashrrev_i32_e32 v22, 31, v21
	s_delay_alu instid0(VALU_DEP_4) | instskip(NEXT) | instid1(VALU_DEP_3)
	v_ashrrev_i32_e32 v103, 31, v102
	v_lshlrev_b64_e32 v[19:20], 3, v[19:20]
	s_delay_alu instid0(VALU_DEP_3) | instskip(NEXT) | instid1(VALU_DEP_3)
	v_lshlrev_b64_e32 v[21:22], 4, v[21:22]
	v_lshlrev_b64_e32 v[112:113], 4, v[102:103]
	s_delay_alu instid0(VALU_DEP_3) | instskip(SKIP_1) | instid1(VALU_DEP_4)
	v_add_co_u32 v102, vcc_lo, v146, v19
	s_wait_alu 0xfffd
	v_add_co_ci_u32_e64 v103, null, v147, v20, vcc_lo
	s_delay_alu instid0(VALU_DEP_4)
	v_add_co_u32 v150, vcc_lo, v36, v21
	s_wait_alu 0xfffd
	v_add_co_ci_u32_e64 v151, null, v37, v22, vcc_lo
	v_add_co_u32 v160, vcc_lo, v48, v112
	s_wait_alu 0xfffd
	v_add_co_ci_u32_e64 v161, null, v49, v113, vcc_lo
	s_branch .LBB0_131
.LBB0_128:                              ;   in Loop: Header=BB0_131 Depth=3
	s_wait_alu 0xfffe
	s_or_b32 exec_lo, exec_lo, s10
.LBB0_129:                              ;   in Loop: Header=BB0_131 Depth=3
	s_wait_alu 0xfffe
	s_or_b32 exec_lo, exec_lo, s23
.LBB0_130:                              ;   in Loop: Header=BB0_131 Depth=3
	s_wait_alu 0xfffe
	s_or_b32 exec_lo, exec_lo, s22
	v_add_co_u32 v102, vcc_lo, v102, v86
	s_wait_alu 0xfffd
	v_add_co_ci_u32_e64 v103, null, v103, v87, vcc_lo
	s_wait_loadcnt 0x0
	v_add_co_u32 v17, vcc_lo, v19, v114
	v_sub_nc_u32_e32 v162, v162, v1
	s_wait_alu 0xfffd
	v_add_co_ci_u32_e64 v19, null, 0, v115, vcc_lo
	v_add_co_u32 v112, vcc_lo, v160, v112
	s_wait_alu 0xfffd
	v_add_co_ci_u32_e64 v113, null, v161, v113, vcc_lo
	v_cmp_gt_i32_e32 vcc_lo, 1, v162
	v_dual_mov_b32 v20, v18 :: v_dual_add_nc_u32 v19, v19, v21
	v_add_nc_u32_e32 v66, v66, v1
	s_or_b32 s21, vcc_lo, s21
	global_store_b128 v[112:113], v[17:20], off
	s_wait_alu 0xfffe
	s_and_not1_b32 exec_lo, exec_lo, s21
	s_cbranch_execz .LBB0_143
.LBB0_131:                              ;   Parent Loop BB0_40 Depth=1
                                        ;     Parent Loop BB0_85 Depth=2
                                        ; =>    This Loop Header: Depth=3
                                        ;         Child Loop BB0_136 Depth 4
	v_lshlrev_b64_e32 v[112:113], 4, v[66:67]
	s_delay_alu instid0(VALU_DEP_1) | instskip(SKIP_1) | instid1(VALU_DEP_2)
	v_add_co_u32 v116, vcc_lo, v150, v112
	s_wait_alu 0xfffd
	v_add_co_ci_u32_e64 v117, null, v151, v113, vcc_lo
	v_cmp_eq_u32_e32 vcc_lo, 0, v163
	v_mov_b32_e32 v163, 1
	global_load_b64 v[114:115], v[102:103], off th:TH_LOAD_NT
	global_load_b128 v[19:22], v[116:117], off th:TH_LOAD_NT
	s_and_saveexec_b32 s22, vcc_lo
	s_cbranch_execz .LBB0_130
; %bb.132:                              ;   in Loop: Header=BB0_131 Depth=3
	s_wait_loadcnt 0x0
	v_cmp_ne_u32_e32 vcc_lo, v149, v20
	v_cmp_ne_u32_e64 s10, v149, v22
	v_mov_b32_e32 v163, 0
	s_or_b32 s10, vcc_lo, s10
	s_wait_alu 0xfffe
	s_and_saveexec_b32 s23, s10
	s_cbranch_execz .LBB0_129
; %bb.133:                              ;   in Loop: Header=BB0_131 Depth=3
	v_cmp_eq_u32_e64 s10, 0, v135
	v_mov_b32_e32 v163, 0
	s_mov_b32 s24, 0
	s_mov_b32 s27, 1
                                        ; implicit-def: $sgpr25
                                        ; implicit-def: $sgpr26
	s_branch .LBB0_136
.LBB0_134:                              ;   in Loop: Header=BB0_136 Depth=4
	s_wait_alu 0xfffe
	s_or_b32 exec_lo, exec_lo, s28
	s_delay_alu instid0(SALU_CYCLE_1)
	s_and_not1_b32 s26, s26, exec_lo
	s_or_not1_b32 s11, s11, exec_lo
.LBB0_135:                              ;   in Loop: Header=BB0_136 Depth=4
	s_wait_alu 0xfffe
	s_or_b32 exec_lo, exec_lo, s40
	s_delay_alu instid0(SALU_CYCLE_1)
	s_and_b32 s11, exec_lo, s11
	s_wait_alu 0xfffe
	s_or_b32 s24, s11, s24
	s_and_not1_b32 s11, s25, exec_lo
	s_and_b32 s25, s26, exec_lo
	s_wait_alu 0xfffe
	s_or_b32 s25, s11, s25
	s_and_not1_b32 exec_lo, exec_lo, s24
	s_cbranch_execz .LBB0_141
.LBB0_136:                              ;   Parent Loop BB0_40 Depth=1
                                        ;     Parent Loop BB0_85 Depth=2
                                        ;       Parent Loop BB0_131 Depth=3
                                        ; =>      This Inner Loop Header: Depth=4
	s_wait_loadcnt 0x0
	global_load_b128 v[19:22], v[116:117], off th:TH_LOAD_NT
	s_wait_alu 0xfffe
	s_add_co_i32 s27, s27, 1
	s_mov_b32 s11, -1
	s_wait_alu 0xfffe
	s_cmp_lg_u32 s27, 0x2710
	s_mov_b32 s29, -1
	s_cselect_b32 s28, -1, 0
                                        ; implicit-def: $vgpr17
	s_wait_alu 0xfffe
	s_and_b32 vcc_lo, exec_lo, s28
	s_wait_alu 0xfffe
	s_cbranch_vccz .LBB0_138
; %bb.137:                              ;   in Loop: Header=BB0_136 Depth=4
	s_or_b32 s26, s26, exec_lo
	s_and_saveexec_b32 s40, s28
	s_cbranch_execz .LBB0_135
	s_branch .LBB0_139
.LBB0_138:                              ;   in Loop: Header=BB0_136 Depth=4
	s_trap 2
	ds_load_b64 v[163:164], v0
	s_and_not1_b32 s28, s28, exec_lo
	s_mov_b32 s27, 0
	s_or_not1_b32 s29, s10, exec_lo
	s_wait_storecnt 0x0
	s_wait_loadcnt_dscnt 0x0
	flat_load_b32 v17, v[163:164] scope:SCOPE_SYS
	s_wait_loadcnt_dscnt 0x0
	global_inv scope:SCOPE_SYS
	v_mov_b32_e32 v163, v135
	v_cmp_eq_u32_e32 vcc_lo, 0, v17
	s_and_b32 s40, vcc_lo, exec_lo
	s_wait_alu 0xfffe
	s_or_b32 s28, s28, s40
	s_or_b32 s26, s26, exec_lo
	s_wait_alu 0xfffe
	s_and_saveexec_b32 s40, s28
	s_cbranch_execz .LBB0_135
.LBB0_139:                              ;   in Loop: Header=BB0_136 Depth=4
	s_and_saveexec_b32 s28, s29
	s_cbranch_execz .LBB0_134
; %bb.140:                              ;   in Loop: Header=BB0_136 Depth=4
	s_wait_loadcnt 0x0
	v_cmp_eq_u32_e32 vcc_lo, v149, v20
	v_cmp_eq_u32_e64 s11, v149, v22
	s_and_b32 s11, vcc_lo, s11
	s_wait_alu 0xfffe
	s_or_not1_b32 s11, s11, exec_lo
	s_branch .LBB0_134
.LBB0_141:                              ;   in Loop: Header=BB0_131 Depth=3
	s_or_b32 exec_lo, exec_lo, s24
	s_wait_alu 0xfffe
	s_and_saveexec_b32 s10, s25
	s_wait_alu 0xfffe
	s_xor_b32 s10, exec_lo, s10
	s_cbranch_execz .LBB0_128
; %bb.142:                              ;   in Loop: Header=BB0_131 Depth=3
	v_mov_b32_e32 v163, 1
	v_mov_b32_e32 v135, 1
	s_wait_loadcnt 0x0
	s_wait_storecnt 0x0
	ds_store_b32 v0, v17
	s_trap 2
	s_branch .LBB0_128
.LBB0_143:                              ;   in Loop: Header=BB0_85 Depth=2
	s_or_b32 exec_lo, exec_lo, s21
	s_delay_alu instid0(SALU_CYCLE_1)
	s_or_b32 exec_lo, exec_lo, s14
	s_and_saveexec_b32 s10, s3
	s_cbranch_execz .LBB0_122
.LBB0_144:                              ;   in Loop: Header=BB0_85 Depth=2
	s_and_saveexec_b32 s11, s4
	s_wait_alu 0xfffe
	s_xor_b32 s11, exec_lo, s11
	s_cbranch_execz .LBB0_159
; %bb.145:                              ;   in Loop: Header=BB0_85 Depth=2
	s_and_saveexec_b32 s14, s5
	s_cbranch_execz .LBB0_158
; %bb.146:                              ;   in Loop: Header=BB0_85 Depth=2
	s_mov_b32 s22, exec_lo
	s_mov_b32 s21, exec_lo
	s_wait_alu 0xfffe
	v_mbcnt_lo_u32_b32 v17, s22, 0
	s_wait_storecnt 0x0
	s_wait_loadcnt_dscnt 0x0
	global_inv scope:SCOPE_DEV
	v_cmpx_eq_u32_e32 0, v17
	s_cbranch_execz .LBB0_148
; %bb.147:                              ;   in Loop: Header=BB0_85 Depth=2
	s_bcnt1_i32_b32 s22, s22
	s_wait_alu 0xfffe
	v_dual_mov_b32 v20, v67 :: v_dual_mov_b32 v19, s22
	s_wait_loadcnt 0x0
	ds_add_u64 v0, v[19:20]
	s_trap 2
.LBB0_148:                              ;   in Loop: Header=BB0_85 Depth=2
	s_or_b32 exec_lo, exec_lo, s21
	s_trap 2
	ds_load_b64 v[19:20], v0
	s_wait_dscnt 0x0
	global_inv scope:SCOPE_SE
	v_add_co_u32 v2, vcc_lo, v2, v118
	s_wait_alu 0xfffd
	v_add_co_ci_u32_e64 v3, null, 0, v3, vcc_lo
	s_mov_b32 s21, exec_lo
	v_cmpx_lt_u64_e64 v[19:20], v[2:3]
	s_cbranch_execz .LBB0_157
; %bb.149:                              ;   in Loop: Header=BB0_85 Depth=2
	s_mov_b32 s22, 0
	s_mov_b32 s25, 0
                                        ; implicit-def: $sgpr23
                                        ; implicit-def: $sgpr24
	s_branch .LBB0_151
.LBB0_150:                              ;   in Loop: Header=BB0_151 Depth=3
	s_wait_alu 0xfffe
	s_or_b32 exec_lo, exec_lo, s27
	s_delay_alu instid0(SALU_CYCLE_1)
	s_and_b32 s26, exec_lo, s28
	s_wait_alu 0xfffe
	s_or_b32 s22, s26, s22
	s_and_not1_b32 s23, s23, exec_lo
	s_and_b32 s26, s24, exec_lo
	s_wait_alu 0xfffe
	s_or_b32 s23, s23, s26
	s_and_not1_b32 exec_lo, exec_lo, s22
	s_cbranch_execz .LBB0_155
.LBB0_151:                              ;   Parent Loop BB0_40 Depth=1
                                        ;     Parent Loop BB0_85 Depth=2
                                        ; =>    This Inner Loop Header: Depth=3
	s_wait_alu 0xfffe
	s_add_co_i32 s25, s25, 1
	s_wait_alu 0xfffe
	s_cmp_lg_u32 s25, 0x2710
	s_cselect_b32 s26, -1, 0
	s_wait_alu 0xfffe
	s_and_b32 vcc_lo, exec_lo, s26
	s_wait_alu 0xfffe
	s_cbranch_vccz .LBB0_153
; %bb.152:                              ;   in Loop: Header=BB0_151 Depth=3
	s_mov_b32 s28, -1
	s_or_b32 s24, s24, exec_lo
	s_and_saveexec_b32 s27, s26
	s_cbranch_execz .LBB0_150
	s_branch .LBB0_154
.LBB0_153:                              ;   in Loop: Header=BB0_151 Depth=3
	s_trap 2
	ds_load_b64 v[19:20], v0
	s_and_not1_b32 s26, s26, exec_lo
	s_mov_b32 s25, 0
	s_wait_loadcnt_dscnt 0x0
	flat_load_b32 v17, v[19:20] scope:SCOPE_SYS
	s_wait_loadcnt_dscnt 0x0
	global_inv scope:SCOPE_SYS
	v_cmp_eq_u32_e32 vcc_lo, 0, v17
	s_and_b32 s27, vcc_lo, exec_lo
	s_wait_alu 0xfffe
	s_or_b32 s26, s26, s27
	s_mov_b32 s28, -1
	s_or_b32 s24, s24, exec_lo
	s_wait_alu 0xfffe
	s_and_saveexec_b32 s27, s26
	s_cbranch_execz .LBB0_150
.LBB0_154:                              ;   in Loop: Header=BB0_151 Depth=3
	s_sleep 1
	s_trap 2
	ds_load_b64 v[19:20], v0
	s_wait_dscnt 0x0
	global_inv scope:SCOPE_SE
	s_wait_alu 0xfffe
	s_and_not1_b32 s24, s24, exec_lo
	v_cmp_ge_u64_e32 vcc_lo, v[19:20], v[2:3]
	s_or_not1_b32 s28, vcc_lo, exec_lo
	s_branch .LBB0_150
.LBB0_155:                              ;   in Loop: Header=BB0_85 Depth=2
	s_or_b32 exec_lo, exec_lo, s22
	s_wait_alu 0xfffe
	s_and_saveexec_b32 s22, s23
	s_wait_alu 0xfffe
	s_xor_b32 s22, exec_lo, s22
	s_cbranch_execz .LBB0_157
; %bb.156:                              ;   in Loop: Header=BB0_85 Depth=2
	ds_store_b32 v0, v134
	s_trap 2
.LBB0_157:                              ;   in Loop: Header=BB0_85 Depth=2
	s_wait_alu 0xfffe
	s_or_b32 exec_lo, exec_lo, s21
	;;#ASMSTART
	s_wakeup
	;;#ASMEND
.LBB0_158:                              ;   in Loop: Header=BB0_85 Depth=2
	s_wait_alu 0xfffe
	s_or_b32 exec_lo, exec_lo, s14
.LBB0_159:                              ;   in Loop: Header=BB0_85 Depth=2
	s_wait_alu 0xfffe
	s_and_not1_saveexec_b32 s11, s11
	s_cbranch_execz .LBB0_161
; %bb.160:                              ;   in Loop: Header=BB0_85 Depth=2
	s_wait_storecnt 0x0
	s_wait_loadcnt_dscnt 0x0
	global_inv scope:SCOPE_DEV
	s_barrier_signal -1
	s_barrier_wait -1
.LBB0_161:                              ;   in Loop: Header=BB0_85 Depth=2
	s_wait_alu 0xfffe
	s_or_b32 exec_lo, exec_lo, s11
	s_delay_alu instid0(SALU_CYCLE_1)
	s_or_b32 exec_lo, exec_lo, s10
	s_and_saveexec_b32 s10, s6
	s_cbranch_execnz .LBB0_123
	s_branch .LBB0_124
.LBB0_162:                              ;   in Loop: Header=BB0_40 Depth=1
	v_dual_mov_b32 v21, v100 :: v_dual_mov_b32 v22, v101
	s_and_saveexec_b32 s11, s9
	s_cbranch_execnz .LBB0_165
; %bb.163:                              ;   in Loop: Header=BB0_40 Depth=1
	s_wait_alu 0xfffe
	s_or_b32 exec_lo, exec_lo, s11
	s_and_saveexec_b32 s9, s3
	s_cbranch_execnz .LBB0_186
.LBB0_164:                              ;   in Loop: Header=BB0_40 Depth=1
	s_wait_alu 0xfffe
	s_or_b32 exec_lo, exec_lo, s9
	s_and_saveexec_b32 s9, s6
	s_cbranch_execz .LBB0_39
	s_branch .LBB0_204
.LBB0_165:                              ;   in Loop: Header=BB0_40 Depth=1
	flat_load_b32 v17, v[23:24]
	v_dual_mov_b32 v117, v135 :: v_dual_and_b32 v20, 7, v38
	v_add_nc_u32_e32 v114, 1, v38
	s_mov_b32 s14, 0
	s_wait_loadcnt_dscnt 0x0
	v_ashrrev_i32_e32 v19, 31, v17
	v_mul_lo_u32 v66, v71, v17
	v_mad_co_u64_u32 v[17:18], null, v70, v17, 0
	s_delay_alu instid0(VALU_DEP_3) | instskip(SKIP_1) | instid1(VALU_DEP_2)
	v_mul_lo_u32 v100, v70, v19
	v_mul_lo_u32 v19, v20, s18
	v_add3_u32 v18, v18, v100, v66
	s_delay_alu instid0(VALU_DEP_2)
	v_ashrrev_i32_e32 v20, 31, v19
	v_add_co_u32 v66, vcc_lo, v11, v98
	s_wait_alu 0xfffd
	v_add_co_ci_u32_e64 v100, null, v12, v99, vcc_lo
	v_lshlrev_b64_e32 v[17:18], 3, v[17:18]
	v_lshlrev_b64_e32 v[19:20], 4, v[19:20]
	v_add_co_u32 v98, vcc_lo, v129, v98
	s_wait_alu 0xfffd
	v_add_co_ci_u32_e64 v99, null, v130, v99, vcc_lo
	s_delay_alu instid0(VALU_DEP_4)
	v_add_co_u32 v17, vcc_lo, v66, v17
	s_wait_alu 0xfffd
	v_add_co_ci_u32_e64 v18, null, v100, v18, vcc_lo
	v_add_co_u32 v115, vcc_lo, v36, v19
	s_wait_alu 0xfffd
	v_add_co_ci_u32_e64 v116, null, v37, v20, vcc_lo
	;; [unrolled: 3-line block ×3, first 2 shown]
	v_mov_b32_e32 v66, v4
	s_branch .LBB0_167
.LBB0_166:                              ;   in Loop: Header=BB0_167 Depth=2
	v_sub_nc_u32_e32 v145, v145, v1
	v_add_co_u32 v100, vcc_lo, v100, v86
	s_wait_alu 0xfffd
	v_add_co_ci_u32_e64 v101, null, v101, v87, vcc_lo
	s_delay_alu instid0(VALU_DEP_3)
	v_cmp_gt_i32_e32 vcc_lo, 1, v145
	v_add_co_u32 v98, s9, v98, v86
	s_wait_alu 0xf1ff
	v_add_co_ci_u32_e64 v99, null, v99, v87, s9
	v_add_nc_u32_e32 v66, v66, v1
	s_or_b32 s14, vcc_lo, s14
	s_wait_alu 0xfffe
	s_and_not1_b32 exec_lo, exec_lo, s14
	s_cbranch_execz .LBB0_185
.LBB0_167:                              ;   Parent Loop BB0_40 Depth=1
                                        ; =>  This Loop Header: Depth=2
                                        ;       Child Loop BB0_172 Depth 3
	s_delay_alu instid0(VALU_DEP_1) | instskip(NEXT) | instid1(VALU_DEP_1)
	v_lshlrev_b64_e32 v[17:18], 4, v[66:67]
	v_add_co_u32 v112, vcc_lo, v115, v17
	s_wait_alu 0xfffd
	s_delay_alu instid0(VALU_DEP_2)
	v_add_co_ci_u32_e64 v113, null, v116, v18, vcc_lo
	v_cmp_eq_u32_e32 vcc_lo, 0, v117
	v_mov_b32_e32 v117, 1
	global_load_b64 v[102:103], v[100:101], off th:TH_LOAD_NT
	global_load_b128 v[17:20], v[112:113], off th:TH_LOAD_NT
	s_and_saveexec_b32 s20, vcc_lo
	s_cbranch_execz .LBB0_181
; %bb.168:                              ;   in Loop: Header=BB0_167 Depth=2
	s_wait_loadcnt 0x0
	v_cmp_ne_u32_e32 vcc_lo, v114, v18
	v_cmp_ne_u32_e64 s9, v114, v20
	v_mov_b32_e32 v117, 0
	s_or_b32 s9, vcc_lo, s9
	s_wait_alu 0xfffe
	s_and_saveexec_b32 s21, s9
	s_cbranch_execz .LBB0_180
; %bb.169:                              ;   in Loop: Header=BB0_167 Depth=2
	v_cmp_eq_u32_e64 s9, 0, v135
	v_mov_b32_e32 v117, 0
	s_mov_b32 s22, 0
	s_mov_b32 s25, 1
                                        ; implicit-def: $sgpr23
                                        ; implicit-def: $sgpr24
	s_branch .LBB0_172
.LBB0_170:                              ;   in Loop: Header=BB0_172 Depth=3
	s_wait_alu 0xfffe
	s_or_b32 exec_lo, exec_lo, s26
	s_delay_alu instid0(SALU_CYCLE_1)
	s_and_not1_b32 s24, s24, exec_lo
	s_or_not1_b32 s10, s10, exec_lo
.LBB0_171:                              ;   in Loop: Header=BB0_172 Depth=3
	s_wait_alu 0xfffe
	s_or_b32 exec_lo, exec_lo, s28
	s_delay_alu instid0(SALU_CYCLE_1)
	s_and_b32 s10, exec_lo, s10
	s_wait_alu 0xfffe
	s_or_b32 s22, s10, s22
	s_and_not1_b32 s10, s23, exec_lo
	s_and_b32 s23, s24, exec_lo
	s_wait_alu 0xfffe
	s_or_b32 s23, s10, s23
	s_and_not1_b32 exec_lo, exec_lo, s22
	s_cbranch_execz .LBB0_177
.LBB0_172:                              ;   Parent Loop BB0_40 Depth=1
                                        ;     Parent Loop BB0_167 Depth=2
                                        ; =>    This Inner Loop Header: Depth=3
	s_wait_loadcnt 0x0
	global_load_b128 v[17:20], v[112:113], off th:TH_LOAD_NT
	s_wait_alu 0xfffe
	s_add_co_i32 s25, s25, 1
	s_mov_b32 s10, -1
	s_wait_alu 0xfffe
	s_cmp_lg_u32 s25, 0x2710
	s_mov_b32 s27, -1
	s_cselect_b32 s26, -1, 0
                                        ; implicit-def: $vgpr144
	s_wait_alu 0xfffe
	s_and_b32 vcc_lo, exec_lo, s26
	s_wait_alu 0xfffe
	s_cbranch_vccz .LBB0_174
; %bb.173:                              ;   in Loop: Header=BB0_172 Depth=3
	s_or_b32 s24, s24, exec_lo
	s_and_saveexec_b32 s28, s26
	s_cbranch_execz .LBB0_171
	s_branch .LBB0_175
.LBB0_174:                              ;   in Loop: Header=BB0_172 Depth=3
	s_trap 2
	ds_load_b64 v[146:147], v0
	v_mov_b32_e32 v117, v135
	s_and_not1_b32 s26, s26, exec_lo
	s_mov_b32 s25, 0
	s_or_not1_b32 s27, s9, exec_lo
	s_wait_storecnt 0x0
	s_wait_loadcnt_dscnt 0x0
	flat_load_b32 v144, v[146:147] scope:SCOPE_SYS
	s_wait_loadcnt_dscnt 0x0
	global_inv scope:SCOPE_SYS
	v_cmp_eq_u32_e32 vcc_lo, 0, v144
	s_and_b32 s28, vcc_lo, exec_lo
	s_wait_alu 0xfffe
	s_or_b32 s26, s26, s28
	s_or_b32 s24, s24, exec_lo
	s_wait_alu 0xfffe
	s_and_saveexec_b32 s28, s26
	s_cbranch_execz .LBB0_171
.LBB0_175:                              ;   in Loop: Header=BB0_172 Depth=3
	s_and_saveexec_b32 s26, s27
	s_cbranch_execz .LBB0_170
; %bb.176:                              ;   in Loop: Header=BB0_172 Depth=3
	s_wait_loadcnt 0x0
	v_cmp_eq_u32_e32 vcc_lo, v114, v18
	v_cmp_eq_u32_e64 s10, v114, v20
	s_and_b32 s10, vcc_lo, s10
	s_wait_alu 0xfffe
	s_or_not1_b32 s10, s10, exec_lo
	s_branch .LBB0_170
.LBB0_177:                              ;   in Loop: Header=BB0_167 Depth=2
	s_or_b32 exec_lo, exec_lo, s22
	s_wait_alu 0xfffe
	s_and_saveexec_b32 s9, s23
	s_wait_alu 0xfffe
	s_xor_b32 s9, exec_lo, s9
	s_cbranch_execz .LBB0_179
; %bb.178:                              ;   in Loop: Header=BB0_167 Depth=2
	v_mov_b32_e32 v117, 1
	v_mov_b32_e32 v135, 1
	s_wait_loadcnt 0x0
	s_wait_storecnt 0x0
	ds_store_b32 v0, v144
	s_trap 2
.LBB0_179:                              ;   in Loop: Header=BB0_167 Depth=2
	s_wait_alu 0xfffe
	s_or_b32 exec_lo, exec_lo, s9
.LBB0_180:                              ;   in Loop: Header=BB0_167 Depth=2
	s_wait_alu 0xfffe
	s_or_b32 exec_lo, exec_lo, s21
.LBB0_181:                              ;   in Loop: Header=BB0_167 Depth=2
	s_wait_alu 0xfffe
	s_or_b32 exec_lo, exec_lo, s20
	s_wait_loadcnt 0x0
	v_add_co_u32 v17, vcc_lo, v17, v102
	s_wait_alu 0xfffd
	v_add_co_ci_u32_e64 v18, null, 0, v103, vcc_lo
	v_mov_b32_e32 v103, v67
	s_delay_alu instid0(VALU_DEP_3) | instskip(SKIP_1) | instid1(VALU_DEP_3)
	v_add_co_u32 v17, vcc_lo, v17, 0
	s_wait_alu 0xfffd
	v_add_co_ci_u32_e64 v18, null, v18, v19, vcc_lo
	s_delay_alu instid0(VALU_DEP_2) | instskip(NEXT) | instid1(VALU_DEP_2)
	v_sub_co_u32 v19, s9, 0, v17
	v_cmp_gt_i64_e32 vcc_lo, 0, v[17:18]
	s_wait_alu 0xf1ff
	v_sub_co_ci_u32_e64 v20, null, 0, v18, s9
	s_and_b32 vcc_lo, s8, vcc_lo
	s_wait_alu 0xfffe
	v_dual_cndmask_b32 v112, v18, v20 :: v_dual_cndmask_b32 v113, v17, v19
	v_mov_b32_e32 v18, v67
	v_mov_b32_e32 v20, v67
	s_delay_alu instid0(VALU_DEP_3) | instskip(NEXT) | instid1(VALU_DEP_1)
	v_mul_hi_u32 v17, v113, v29
	v_mad_co_u64_u32 v[17:18], null, v112, v29, v[17:18]
	s_delay_alu instid0(VALU_DEP_1) | instskip(NEXT) | instid1(VALU_DEP_1)
	v_dual_mov_b32 v19, v17 :: v_dual_mov_b32 v102, v18
	v_mad_co_u64_u32 v[17:18], null, v113, v30, v[19:20]
	s_delay_alu instid0(VALU_DEP_2) | instskip(NEXT) | instid1(VALU_DEP_1)
	v_mad_co_u64_u32 v[19:20], null, v112, v30, v[102:103]
	v_add_co_u32 v102, s9, v19, v18
	s_wait_alu 0xf1ff
	s_delay_alu instid0(VALU_DEP_2) | instskip(NEXT) | instid1(VALU_DEP_2)
	v_add_co_ci_u32_e64 v20, null, 0, v20, s9
	v_mad_co_u64_u32 v[17:18], null, v102, v27, 0
	s_delay_alu instid0(VALU_DEP_1) | instskip(NEXT) | instid1(VALU_DEP_2)
	v_mad_co_u64_u32 v[18:19], null, v20, v27, v[18:19]
	v_sub_co_u32 v17, s9, v113, v17
	v_cndmask_b32_e64 v19, 0, 1, s7
	s_wait_alu 0xf1ff
	s_delay_alu instid0(VALU_DEP_3) | instskip(NEXT) | instid1(VALU_DEP_1)
	v_sub_co_ci_u32_e64 v18, null, v112, v18, s9
	v_cmp_ge_u64_e64 s9, v[17:18], v[27:28]
	s_wait_alu 0xf1ff
	s_delay_alu instid0(VALU_DEP_1) | instskip(NEXT) | instid1(VALU_DEP_1)
	v_cndmask_b32_e64 v17, 0, 1, s9
	v_add_co_u32 v17, s9, v102, v17
	s_wait_alu 0xf1ff
	v_add_co_ci_u32_e64 v18, null, 0, v20, s9
	s_delay_alu instid0(VALU_DEP_2) | instskip(SKIP_1) | instid1(VALU_DEP_2)
	v_sub_co_u32 v20, s9, 0, v17
	s_wait_alu 0xf1ff
	v_sub_co_ci_u32_e64 v102, null, 0, v18, s9
	v_cmp_ne_u32_e64 s9, 0, v19
	s_delay_alu instid0(VALU_DEP_2)
	v_dual_cndmask_b32 v17, v17, v20 :: v_dual_cndmask_b32 v18, v18, v102
	s_cmp_eq_u32 s9, exec_lo
	s_mov_b32 s9, -1
	s_cbranch_scc1 .LBB0_183
; %bb.182:                              ;   in Loop: Header=BB0_167 Depth=2
	s_mov_b32 s9, 0
	flat_store_b64 v[98:99], v[17:18]
.LBB0_183:                              ;   in Loop: Header=BB0_167 Depth=2
	s_wait_alu 0xfffe
	s_and_not1_b32 vcc_lo, exec_lo, s9
	s_wait_alu 0xfffe
	s_cbranch_vccnz .LBB0_166
; %bb.184:                              ;   in Loop: Header=BB0_167 Depth=2
	global_store_b64 v[98:99], v[17:18], off
	s_branch .LBB0_166
.LBB0_185:                              ;   in Loop: Header=BB0_40 Depth=1
	s_or_b32 exec_lo, exec_lo, s14
	s_delay_alu instid0(SALU_CYCLE_1)
	s_or_b32 exec_lo, exec_lo, s11
	s_and_saveexec_b32 s9, s3
	s_cbranch_execz .LBB0_164
.LBB0_186:                              ;   in Loop: Header=BB0_40 Depth=1
	s_and_saveexec_b32 s10, s4
	s_wait_alu 0xfffe
	s_xor_b32 s10, exec_lo, s10
	s_cbranch_execz .LBB0_201
; %bb.187:                              ;   in Loop: Header=BB0_40 Depth=1
	s_and_saveexec_b32 s11, s5
	s_cbranch_execz .LBB0_200
; %bb.188:                              ;   in Loop: Header=BB0_40 Depth=1
	s_mov_b32 s20, exec_lo
	s_mov_b32 s14, exec_lo
	s_wait_alu 0xfffe
	v_mbcnt_lo_u32_b32 v17, s20, 0
	s_wait_storecnt 0x0
	s_wait_loadcnt_dscnt 0x0
	global_inv scope:SCOPE_DEV
	v_cmpx_eq_u32_e32 0, v17
	s_cbranch_execz .LBB0_190
; %bb.189:                              ;   in Loop: Header=BB0_40 Depth=1
	s_bcnt1_i32_b32 s20, s20
	s_wait_alu 0xfffe
	v_mov_b32_e32 v66, s20
	s_wait_loadcnt 0x0
	ds_add_u64 v0, v[66:67]
	s_trap 2
.LBB0_190:                              ;   in Loop: Header=BB0_40 Depth=1
	s_or_b32 exec_lo, exec_lo, s14
	s_trap 2
	ds_load_b64 v[17:18], v0
	s_wait_dscnt 0x0
	global_inv scope:SCOPE_SE
	v_add_co_u32 v2, vcc_lo, v2, v118
	s_wait_alu 0xfffd
	v_add_co_ci_u32_e64 v3, null, 0, v3, vcc_lo
	s_mov_b32 s14, exec_lo
	v_cmpx_lt_u64_e64 v[17:18], v[2:3]
	s_cbranch_execz .LBB0_199
; %bb.191:                              ;   in Loop: Header=BB0_40 Depth=1
	s_mov_b32 s20, 0
	s_mov_b32 s23, 0
                                        ; implicit-def: $sgpr21
                                        ; implicit-def: $sgpr22
	s_branch .LBB0_193
.LBB0_192:                              ;   in Loop: Header=BB0_193 Depth=2
	s_wait_alu 0xfffe
	s_or_b32 exec_lo, exec_lo, s25
	s_delay_alu instid0(SALU_CYCLE_1)
	s_and_b32 s24, exec_lo, s26
	s_wait_alu 0xfffe
	s_or_b32 s20, s24, s20
	s_and_not1_b32 s21, s21, exec_lo
	s_and_b32 s24, s22, exec_lo
	s_wait_alu 0xfffe
	s_or_b32 s21, s21, s24
	s_and_not1_b32 exec_lo, exec_lo, s20
	s_cbranch_execz .LBB0_197
.LBB0_193:                              ;   Parent Loop BB0_40 Depth=1
                                        ; =>  This Inner Loop Header: Depth=2
	s_wait_alu 0xfffe
	s_add_co_i32 s23, s23, 1
	s_wait_alu 0xfffe
	s_cmp_lg_u32 s23, 0x2710
	s_cselect_b32 s24, -1, 0
	s_wait_alu 0xfffe
	s_and_b32 vcc_lo, exec_lo, s24
	s_wait_alu 0xfffe
	s_cbranch_vccz .LBB0_195
; %bb.194:                              ;   in Loop: Header=BB0_193 Depth=2
	s_mov_b32 s26, -1
	s_or_b32 s22, s22, exec_lo
	s_and_saveexec_b32 s25, s24
	s_cbranch_execz .LBB0_192
	s_branch .LBB0_196
.LBB0_195:                              ;   in Loop: Header=BB0_193 Depth=2
	s_trap 2
	ds_load_b64 v[17:18], v0
	s_and_not1_b32 s24, s24, exec_lo
	s_mov_b32 s23, 0
	s_wait_loadcnt_dscnt 0x0
	flat_load_b32 v17, v[17:18] scope:SCOPE_SYS
	s_wait_loadcnt_dscnt 0x0
	global_inv scope:SCOPE_SYS
	v_cmp_eq_u32_e32 vcc_lo, 0, v17
	s_and_b32 s25, vcc_lo, exec_lo
	s_wait_alu 0xfffe
	s_or_b32 s24, s24, s25
	s_mov_b32 s26, -1
	s_or_b32 s22, s22, exec_lo
	s_wait_alu 0xfffe
	s_and_saveexec_b32 s25, s24
	s_cbranch_execz .LBB0_192
.LBB0_196:                              ;   in Loop: Header=BB0_193 Depth=2
	s_sleep 1
	s_trap 2
	ds_load_b64 v[17:18], v0
	s_wait_dscnt 0x0
	global_inv scope:SCOPE_SE
	s_wait_alu 0xfffe
	s_and_not1_b32 s22, s22, exec_lo
	v_cmp_ge_u64_e32 vcc_lo, v[17:18], v[2:3]
	s_or_not1_b32 s26, vcc_lo, exec_lo
	s_branch .LBB0_192
.LBB0_197:                              ;   in Loop: Header=BB0_40 Depth=1
	s_or_b32 exec_lo, exec_lo, s20
	s_wait_alu 0xfffe
	s_and_saveexec_b32 s20, s21
	s_wait_alu 0xfffe
	s_xor_b32 s20, exec_lo, s20
	s_cbranch_execz .LBB0_199
; %bb.198:                              ;   in Loop: Header=BB0_40 Depth=1
	ds_store_b32 v0, v134
	s_trap 2
.LBB0_199:                              ;   in Loop: Header=BB0_40 Depth=1
	s_wait_alu 0xfffe
	s_or_b32 exec_lo, exec_lo, s14
	;;#ASMSTART
	s_wakeup
	;;#ASMEND
.LBB0_200:                              ;   in Loop: Header=BB0_40 Depth=1
	s_wait_alu 0xfffe
	s_or_b32 exec_lo, exec_lo, s11
.LBB0_201:                              ;   in Loop: Header=BB0_40 Depth=1
	s_wait_alu 0xfffe
	s_and_not1_saveexec_b32 s10, s10
	s_cbranch_execz .LBB0_203
; %bb.202:                              ;   in Loop: Header=BB0_40 Depth=1
	s_wait_storecnt 0x0
	s_wait_loadcnt_dscnt 0x0
	global_inv scope:SCOPE_DEV
	s_barrier_signal -1
	s_barrier_wait -1
.LBB0_203:                              ;   in Loop: Header=BB0_40 Depth=1
	s_wait_alu 0xfffe
	s_or_b32 exec_lo, exec_lo, s10
	s_delay_alu instid0(SALU_CYCLE_1)
	s_or_b32 exec_lo, exec_lo, s9
	s_and_saveexec_b32 s9, s6
	s_cbranch_execz .LBB0_39
.LBB0_204:                              ;   in Loop: Header=BB0_40 Depth=1
	v_add_co_u32 v50, vcc_lo, v50, 1
	s_wait_alu 0xfffd
	v_add_co_ci_u32_e64 v51, null, 0, v51, vcc_lo
	global_wb scope:SCOPE_SYS
	s_wait_storecnt 0x0
	s_wait_loadcnt_dscnt 0x0
	flat_store_b64 v[52:53], v[50:51] scope:SCOPE_SYS
	s_branch .LBB0_39
.LBB0_205:
	s_or_b32 exec_lo, exec_lo, s13
	s_delay_alu instid0(SALU_CYCLE_1)
	s_or_b32 exec_lo, exec_lo, s17
	s_and_saveexec_b32 s1, s16
	s_cbranch_execz .LBB0_24
.LBB0_206:
	s_wait_loadcnt_dscnt 0x0
	flat_store_b64 v[34:35], v[50:51] offset:104
	s_wait_alu 0xfffe
	s_or_b32 exec_lo, exec_lo, s1
	s_and_saveexec_b32 s1, s0
	s_cbranch_execnz .LBB0_25
	s_branch .LBB0_26
.LBB0_207:
	s_or_b32 exec_lo, exec_lo, s4
	s_wait_alu 0xfffe
	s_and_saveexec_b32 s4, s5
	s_wait_alu 0xfffe
	s_xor_b32 s4, exec_lo, s4
	s_cbranch_execz .LBB0_209
; %bb.208:
	v_mov_b32_e32 v0, 1
	ds_store_b32 v0, v0
	s_trap 2
.LBB0_209:
	s_wait_alu 0xfffe
	s_or_b32 exec_lo, exec_lo, s3
	;;#ASMSTART
	s_wakeup
	;;#ASMEND
.LBB0_210:
	s_wait_alu 0xfffe
	s_or_b32 exec_lo, exec_lo, s2
.LBB0_211:
	s_wait_alu 0xfffe
	s_and_not1_saveexec_b32 s1, s1
	s_cbranch_execz .LBB0_213
; %bb.212:
	s_wait_storecnt 0x0
	s_wait_loadcnt_dscnt 0x0
	global_inv scope:SCOPE_DEV
	s_barrier_signal -1
	s_barrier_wait -1
.LBB0_213:
	s_wait_alu 0xfffe
	s_or_b32 exec_lo, exec_lo, s0
	s_wait_loadcnt_dscnt 0x0
	s_setpc_b64 s[30:31]
.Lfunc_end0:
	.size	_ZN12_GLOBAL__N_17runRingIm14FuncSumPostDivImE7ProtoLLLi0ELi1ELi0EEEviiP15ncclDevWorkColl, .Lfunc_end0-_ZN12_GLOBAL__N_17runRingIm14FuncSumPostDivImE7ProtoLLLi0ELi1ELi0EEEviiP15ncclDevWorkColl
                                        ; -- End function
	.set .L_ZN12_GLOBAL__N_17runRingIm14FuncSumPostDivImE7ProtoLLLi0ELi1ELi0EEEviiP15ncclDevWorkColl.num_vgpr, 165
	.set .L_ZN12_GLOBAL__N_17runRingIm14FuncSumPostDivImE7ProtoLLLi0ELi1ELi0EEEviiP15ncclDevWorkColl.num_agpr, 0
	.set .L_ZN12_GLOBAL__N_17runRingIm14FuncSumPostDivImE7ProtoLLLi0ELi1ELi0EEEviiP15ncclDevWorkColl.numbered_sgpr, 41
	.set .L_ZN12_GLOBAL__N_17runRingIm14FuncSumPostDivImE7ProtoLLLi0ELi1ELi0EEEviiP15ncclDevWorkColl.num_named_barrier, 0
	.set .L_ZN12_GLOBAL__N_17runRingIm14FuncSumPostDivImE7ProtoLLLi0ELi1ELi0EEEviiP15ncclDevWorkColl.private_seg_size, 0
	.set .L_ZN12_GLOBAL__N_17runRingIm14FuncSumPostDivImE7ProtoLLLi0ELi1ELi0EEEviiP15ncclDevWorkColl.uses_vcc, 1
	.set .L_ZN12_GLOBAL__N_17runRingIm14FuncSumPostDivImE7ProtoLLLi0ELi1ELi0EEEviiP15ncclDevWorkColl.uses_flat_scratch, 1
	.set .L_ZN12_GLOBAL__N_17runRingIm14FuncSumPostDivImE7ProtoLLLi0ELi1ELi0EEEviiP15ncclDevWorkColl.has_dyn_sized_stack, 0
	.set .L_ZN12_GLOBAL__N_17runRingIm14FuncSumPostDivImE7ProtoLLLi0ELi1ELi0EEEviiP15ncclDevWorkColl.has_recursion, 0
	.set .L_ZN12_GLOBAL__N_17runRingIm14FuncSumPostDivImE7ProtoLLLi0ELi1ELi0EEEviiP15ncclDevWorkColl.has_indirect_call, 0
	.section	.AMDGPU.csdata,"",@progbits
; Function info:
; codeLenInByte = 13016
; TotalNumSgprs: 43
; NumVgprs: 165
; ScratchSize: 0
; MemoryBound: 0
	.text
	.p2align	2                               ; -- Begin function _Z54ncclDevFunc_ReduceScatter_RING_LL_SumPostDiv_u64_0_0_1v
	.type	_Z54ncclDevFunc_ReduceScatter_RING_LL_SumPostDiv_u64_0_0_1v,@function
_Z54ncclDevFunc_ReduceScatter_RING_LL_SumPostDiv_u64_0_0_1v: ; @_Z54ncclDevFunc_ReduceScatter_RING_LL_SumPostDiv_u64_0_0_1v
; %bb.0:
	s_wait_loadcnt_dscnt 0x0
	s_wait_expcnt 0x0
	s_wait_samplecnt 0x0
	s_wait_bvhcnt 0x0
	s_wait_kmcnt 0x0
	s_mov_b32 s46, s33
	s_mov_b32 s33, s32
	s_or_saveexec_b32 s0, -1
	scratch_store_b32 off, v40, s33         ; 4-byte Folded Spill
	s_wait_alu 0xfffe
	s_mov_b32 exec_lo, s0
	v_writelane_b32 v40, s30, 0
	s_add_co_i32 s32, s32, 16
	v_writelane_b32 v40, s31, 1
	s_trap 2
	ds_load_b32 v0, v0
	v_and_b32_e32 v165, 0x3ff, v31
	s_mov_b32 s41, s12
	s_mov_b64 s[42:43], s[8:9]
	s_mov_b32 s2, exec_lo
	s_wait_dscnt 0x0
	v_cmpx_lt_i32_e64 v165, v0
	s_cbranch_execz .LBB1_5
; %bb.1:
	s_load_b32 s0, s[42:43], 0x0
	s_mov_b32 s1, 0
	v_mov_b32_e32 v2, v165
                                        ; implicit-def: $vgpr3
	s_wait_kmcnt 0x0
	s_cmp_lt_u32 ttmp9, s0
	s_cselect_b32 s0, 12, 18
	s_wait_alu 0xfffe
	s_add_nc_u64 s[4:5], s[42:43], s[0:1]
	s_load_u16 s0, s[4:5], 0x0
	s_trap 2
	ds_load_b32 v1, v0
	s_wait_dscnt 0x0
	s_wait_kmcnt 0x0
	v_mul_lo_u32 v1, v1, s0
	s_branch .LBB1_3
.LBB1_2:                                ;   in Loop: Header=BB1_3 Depth=1
	s_wait_alu 0xfffe
	s_or_b32 exec_lo, exec_lo, s3
	v_add_nc_u32_e32 v2, s0, v2
	v_add_nc_u32_e32 v3, v3, v1
	s_delay_alu instid0(VALU_DEP_2)
	v_cmp_ge_i32_e32 vcc_lo, v2, v0
	s_or_b32 s1, vcc_lo, s1
	s_wait_alu 0xfffe
	s_and_not1_b32 exec_lo, exec_lo, s1
	s_cbranch_execz .LBB1_5
.LBB1_3:                                ; =>This Inner Loop Header: Depth=1
	ds_load_b32 v4, v3
	s_mov_b32 s3, exec_lo
	s_wait_dscnt 0x0
	v_and_b32_e32 v4, 0x1000000, v4
	s_delay_alu instid0(VALU_DEP_1)
	v_cmpx_ne_u32_e32 0, v4
	s_cbranch_execz .LBB1_2
; %bb.4:                                ;   in Loop: Header=BB1_3 Depth=1
	ds_load_b64 v[4:5], v3 offset:104
	s_wait_dscnt 0x0
	flat_load_b64 v[4:5], v[4:5]
	s_wait_loadcnt_dscnt 0x0
	ds_store_b64 v3, v[4:5] offset:104
	s_branch .LBB1_2
.LBB1_5:
	s_wait_alu 0xfffe
	s_or_b32 exec_lo, exec_lo, s2
	s_wait_storecnt_dscnt 0x0
	s_barrier_signal -1
	s_barrier_wait -1
	global_inv scope:SCOPE_SE
	s_trap 2
	ds_load_b32 v0, v0
	s_wait_dscnt 0x0
	v_cmp_gt_i32_e32 vcc_lo, 1, v0
	s_cbranch_vccnz .LBB1_13
; %bb.6:
	s_mov_b32 s44, 0
	s_branch .LBB1_8
.LBB1_7:                                ;   in Loop: Header=BB1_8 Depth=1
	s_wait_alu 0xfffe
	s_or_b32 exec_lo, exec_lo, s45
	s_trap 2
	ds_load_b32 v0, v0
	s_add_co_i32 s44, s44, 1
	s_wait_dscnt 0x0
	s_wait_alu 0xfffe
	v_cmp_lt_i32_e32 vcc_lo, s44, v0
	s_cbranch_vccz .LBB1_13
.LBB1_8:                                ; =>This Inner Loop Header: Depth=1
	s_trap 2
	ds_load_b32 v0, v0
	s_wait_alu 0xfffe
	s_cmp_eq_u32 s44, 0
	s_cbranch_scc1 .LBB1_11
; %bb.9:                                ;   in Loop: Header=BB1_8 Depth=1
	s_trap 2
	s_wait_dscnt 0x0
	ds_load_b32 v1, v0
	s_wait_dscnt 0x0
	v_xor_b32_e32 v1, v1, v0
	s_delay_alu instid0(VALU_DEP_1) | instskip(NEXT) | instid1(VALU_DEP_1)
	v_and_b32_e32 v1, 0xff0000, v1
	v_cmp_eq_u32_e32 vcc_lo, 0, v1
	s_cbranch_vccnz .LBB1_11
; %bb.10:                               ;   in Loop: Header=BB1_8 Depth=1
	s_wait_loadcnt 0x0
	s_barrier_signal -1
	s_barrier_wait -1
	global_inv scope:SCOPE_SE
	ds_load_b32 v0, v0
.LBB1_11:                               ;   in Loop: Header=BB1_8 Depth=1
	s_wait_dscnt 0x0
	v_lshrrev_b32_e32 v0, 11, v0
	s_mov_b32 s45, exec_lo
	s_delay_alu instid0(VALU_DEP_1) | instskip(NEXT) | instid1(VALU_DEP_1)
	v_and_b32_e32 v1, 0x1fe0, v0
	v_cmpx_lt_u32_e64 v165, v1
	s_cbranch_execz .LBB1_7
; %bb.12:                               ;   in Loop: Header=BB1_8 Depth=1
	s_mov_b64 s[0:1], src_shared_base
	s_wait_alu 0xfffe
	v_dual_mov_b32 v0, v165 :: v_dual_mov_b32 v3, s1
	s_getpc_b64 s[2:3]
	s_wait_alu 0xfffe
	s_sext_i32_i16 s3, s3
	s_add_co_u32 s2, s2, _ZN12_GLOBAL__N_17runRingIm14FuncSumPostDivImE7ProtoLLLi0ELi1ELi0EEEviiP15ncclDevWorkColl@rel32@lo+12
	s_wait_alu 0xfffe
	s_add_co_ci_u32 s3, s3, _ZN12_GLOBAL__N_17runRingIm14FuncSumPostDivImE7ProtoLLLi0ELi1ELi0EEEviiP15ncclDevWorkColl@rel32@hi+24
	s_mov_b64 s[8:9], s[42:43]
	s_mov_b32 s12, s41
	s_wait_alu 0xfffe
	s_swappc_b64 s[30:31], s[2:3]
	s_branch .LBB1_7
.LBB1_13:
	v_readlane_b32 s30, v40, 0
	v_readlane_b32 s31, v40, 1
	s_mov_b32 s32, s33
	s_or_saveexec_b32 s0, -1
	scratch_load_b32 v40, off, s33          ; 4-byte Folded Reload
	s_wait_alu 0xfffe
	s_mov_b32 exec_lo, s0
	s_mov_b32 s33, s46
	s_wait_loadcnt 0x0
	s_wait_alu 0xfffe
	s_setpc_b64 s[30:31]
.Lfunc_end1:
	.size	_Z54ncclDevFunc_ReduceScatter_RING_LL_SumPostDiv_u64_0_0_1v, .Lfunc_end1-_Z54ncclDevFunc_ReduceScatter_RING_LL_SumPostDiv_u64_0_0_1v
                                        ; -- End function
	.set .L_Z54ncclDevFunc_ReduceScatter_RING_LL_SumPostDiv_u64_0_0_1v.num_vgpr, max(166, .L_ZN12_GLOBAL__N_17runRingIm14FuncSumPostDivImE7ProtoLLLi0ELi1ELi0EEEviiP15ncclDevWorkColl.num_vgpr)
	.set .L_Z54ncclDevFunc_ReduceScatter_RING_LL_SumPostDiv_u64_0_0_1v.num_agpr, max(0, .L_ZN12_GLOBAL__N_17runRingIm14FuncSumPostDivImE7ProtoLLLi0ELi1ELi0EEEviiP15ncclDevWorkColl.num_agpr)
	.set .L_Z54ncclDevFunc_ReduceScatter_RING_LL_SumPostDiv_u64_0_0_1v.numbered_sgpr, max(47, .L_ZN12_GLOBAL__N_17runRingIm14FuncSumPostDivImE7ProtoLLLi0ELi1ELi0EEEviiP15ncclDevWorkColl.numbered_sgpr)
	.set .L_Z54ncclDevFunc_ReduceScatter_RING_LL_SumPostDiv_u64_0_0_1v.num_named_barrier, max(0, .L_ZN12_GLOBAL__N_17runRingIm14FuncSumPostDivImE7ProtoLLLi0ELi1ELi0EEEviiP15ncclDevWorkColl.num_named_barrier)
	.set .L_Z54ncclDevFunc_ReduceScatter_RING_LL_SumPostDiv_u64_0_0_1v.private_seg_size, 16+max(.L_ZN12_GLOBAL__N_17runRingIm14FuncSumPostDivImE7ProtoLLLi0ELi1ELi0EEEviiP15ncclDevWorkColl.private_seg_size)
	.set .L_Z54ncclDevFunc_ReduceScatter_RING_LL_SumPostDiv_u64_0_0_1v.uses_vcc, or(1, .L_ZN12_GLOBAL__N_17runRingIm14FuncSumPostDivImE7ProtoLLLi0ELi1ELi0EEEviiP15ncclDevWorkColl.uses_vcc)
	.set .L_Z54ncclDevFunc_ReduceScatter_RING_LL_SumPostDiv_u64_0_0_1v.uses_flat_scratch, or(0, .L_ZN12_GLOBAL__N_17runRingIm14FuncSumPostDivImE7ProtoLLLi0ELi1ELi0EEEviiP15ncclDevWorkColl.uses_flat_scratch)
	.set .L_Z54ncclDevFunc_ReduceScatter_RING_LL_SumPostDiv_u64_0_0_1v.has_dyn_sized_stack, or(0, .L_ZN12_GLOBAL__N_17runRingIm14FuncSumPostDivImE7ProtoLLLi0ELi1ELi0EEEviiP15ncclDevWorkColl.has_dyn_sized_stack)
	.set .L_Z54ncclDevFunc_ReduceScatter_RING_LL_SumPostDiv_u64_0_0_1v.has_recursion, or(1, .L_ZN12_GLOBAL__N_17runRingIm14FuncSumPostDivImE7ProtoLLLi0ELi1ELi0EEEviiP15ncclDevWorkColl.has_recursion)
	.set .L_Z54ncclDevFunc_ReduceScatter_RING_LL_SumPostDiv_u64_0_0_1v.has_indirect_call, or(0, .L_ZN12_GLOBAL__N_17runRingIm14FuncSumPostDivImE7ProtoLLLi0ELi1ELi0EEEviiP15ncclDevWorkColl.has_indirect_call)
	.section	.AMDGPU.csdata,"",@progbits
; Function info:
; codeLenInByte = 680
; TotalNumSgprs: 49
; NumVgprs: 166
; ScratchSize: 16
; MemoryBound: 0
	.text
	.p2align	2                               ; -- Begin function _ZN12_GLOBAL__N_17runRingIm14FuncSumPostDivImE7ProtoLLLi0ELi2ELi0EEEviiP15ncclDevWorkColl
	.type	_ZN12_GLOBAL__N_17runRingIm14FuncSumPostDivImE7ProtoLLLi0ELi2ELi0EEEviiP15ncclDevWorkColl,@function
_ZN12_GLOBAL__N_17runRingIm14FuncSumPostDivImE7ProtoLLLi0ELi2ELi0EEEviiP15ncclDevWorkColl: ; @_ZN12_GLOBAL__N_17runRingIm14FuncSumPostDivImE7ProtoLLLi0ELi2ELi0EEEviiP15ncclDevWorkColl
; %bb.0:
	s_wait_loadcnt_dscnt 0x0
	s_wait_expcnt 0x0
	s_wait_samplecnt 0x0
	s_wait_bvhcnt 0x0
	s_wait_kmcnt 0x0
	v_mov_b32_e32 v4, v0
	s_trap 2
	s_clause 0x2
	flat_load_b32 v0, v[2:3]
	flat_load_b128 v[5:8], v[2:3] offset:72
	flat_load_b64 v[19:20], v[2:3] offset:88
	s_mov_b32 s0, exec_lo
                                        ; implicit-def: $vgpr17_vgpr18
                                        ; implicit-def: $vgpr25_vgpr26
	s_wait_loadcnt_dscnt 0x202
	v_and_b32_e32 v11, 0xff, v0
	v_bfe_u32 v10, v0, 8, 8
	s_delay_alu instid0(VALU_DEP_2) | instskip(SKIP_3) | instid1(VALU_DEP_1)
	v_not_b32_e32 v0, v11
	ds_load_b32 v9, v0
	ds_load_b64 v[23:24], v0
	v_add_nc_u32_e32 v12, v10, v0
	v_ashrrev_i32_e32 v13, 31, v12
	s_wait_loadcnt_dscnt 0x103
	v_mul_lo_u32 v14, v8, v12
	v_mad_co_u64_u32 v[66:67], null, v7, v12, 0
	s_delay_alu instid0(VALU_DEP_3) | instskip(NEXT) | instid1(VALU_DEP_1)
	v_mul_lo_u32 v12, v7, v13
	v_add3_u32 v71, v67, v12, v14
	s_wait_dscnt 0x1
	v_readfirstlane_b32 s12, v9
	v_cmpx_ne_u32_e64 v9, v11
	s_wait_alu 0xfffe
	s_xor_b32 s0, exec_lo, s0
	s_cbranch_execz .LBB2_6
; %bb.1:
	s_mov_b32 s1, exec_lo
                                        ; implicit-def: $vgpr17_vgpr18
                                        ; implicit-def: $vgpr25_vgpr26
	v_cmpx_ne_u32_e64 v9, v10
	s_wait_alu 0xfffe
	s_xor_b32 s1, exec_lo, s1
	s_cbranch_execz .LBB2_3
; %bb.2:
	flat_load_b64 v[10:11], v[2:3] offset:96
	v_add_nc_u32_e32 v0, v9, v0
	s_delay_alu instid0(VALU_DEP_1) | instskip(SKIP_2) | instid1(VALU_DEP_3)
	v_ashrrev_i32_e32 v9, 31, v0
	v_mul_lo_u32 v12, v8, v0
	v_mad_co_u64_u32 v[25:26], null, v7, v0, v[5:6]
	v_mul_lo_u32 v9, v7, v9
	s_delay_alu instid0(VALU_DEP_1)
	v_add3_u32 v26, v12, v26, v9
	s_wait_loadcnt_dscnt 0x0
	v_lshrrev_b64 v[17:18], 20, v[10:11]
.LBB2_3:
	s_wait_alu 0xfffe
	s_and_not1_saveexec_b32 s1, s1
	s_cbranch_execz .LBB2_5
; %bb.4:
	flat_load_b32 v0, v[2:3] offset:100
	v_add_co_u32 v25, vcc_lo, v66, v5
	s_wait_alu 0xfffd
	v_add_co_ci_u32_e64 v26, null, v71, v6, vcc_lo
	s_wait_loadcnt 0x1
	v_dual_mov_b32 v7, v19 :: v_dual_mov_b32 v8, v20
	s_wait_loadcnt_dscnt 0x0
	v_lshrrev_b32_e32 v17, 9, v0
.LBB2_5:
	s_wait_alu 0xfffe
	s_or_b32 exec_lo, exec_lo, s1
.LBB2_6:
	s_wait_alu 0xfffe
	s_and_not1_saveexec_b32 s0, s0
	s_cbranch_execz .LBB2_8
; %bb.7:
	flat_load_b64 v[7:8], v[2:3] offset:96
	v_mov_b32_e32 v25, 0
	v_mov_b32_e32 v26, 0
	s_wait_loadcnt_dscnt 0x0
	v_lshlrev_b64_e32 v[17:18], 1, v[7:8]
	v_dual_mov_b32 v8, v6 :: v_dual_mov_b32 v7, v5
.LBB2_8:
	s_wait_alu 0xfffe
	s_or_b32 exec_lo, exec_lo, s0
	s_clause 0x3
	flat_load_b32 v0, v[2:3] offset:104
	flat_load_b128 v[9:12], v[2:3] offset:16
	flat_load_u16 v14, v[2:3] offset:8
	flat_load_b32 v13, v[2:3] offset:4
	v_mov_b32_e32 v29, -1
	v_mov_b32_e32 v30, -1
	s_mov_b32 s0, exec_lo
	v_mov_b32_e32 v28, 0
	s_wait_loadcnt_dscnt 0x303
	v_alignbit_b32 v18, v0, v0, 1
	s_delay_alu instid0(VALU_DEP_1) | instskip(NEXT) | instid1(VALU_DEP_1)
	v_and_b32_e32 v27, 0x7fffffff, v18
	v_cmpx_lt_i32_e32 0, v27
	s_cbranch_execz .LBB2_12
; %bb.9:
	v_dual_mov_b32 v15, 3 :: v_dual_mov_b32 v2, 0
	v_dual_mov_b32 v16, 0 :: v_dual_mov_b32 v3, 0
	s_mov_b32 s1, exec_lo
	v_cmpx_eq_u32_e32 1, v27
; %bb.10:
	v_dual_mov_b32 v15, 1 :: v_dual_mov_b32 v2, 0
	v_mov_b32_e32 v16, 0
	v_bfrev_b32_e32 v3, 1
; %bb.11:
	s_wait_alu 0xfffe
	s_or_b32 exec_lo, exec_lo, s1
	s_delay_alu instid0(VALU_DEP_2) | instskip(NEXT) | instid1(VALU_DEP_2)
	v_cmp_lt_u64_e32 vcc_lo, v[15:16], v[27:28]
	v_or_b32_e32 v0, 2.0, v3
	v_mov_b32_e32 v16, 0
	s_wait_alu 0xfffd
	s_delay_alu instid0(VALU_DEP_2) | instskip(SKIP_1) | instid1(VALU_DEP_1)
	v_cndmask_b32_e32 v0, v0, v3, vcc_lo
	v_cndmask_b32_e64 v3, v27, 0, vcc_lo
	v_sub_nc_u32_e32 v3, v15, v3
	s_delay_alu instid0(VALU_DEP_1) | instskip(NEXT) | instid1(VALU_DEP_4)
	v_lshl_or_b32 v15, v3, 1, 1
	v_or_b32_e32 v3, 0x20000000, v0
	s_delay_alu instid0(VALU_DEP_2) | instskip(SKIP_1) | instid1(VALU_DEP_2)
	v_cmp_lt_u64_e32 vcc_lo, v[15:16], v[27:28]
	s_wait_alu 0xfffd
	v_cndmask_b32_e32 v0, v3, v0, vcc_lo
	v_cndmask_b32_e64 v3, v27, 0, vcc_lo
	s_delay_alu instid0(VALU_DEP_1) | instskip(SKIP_3) | instid1(VALU_DEP_2)
	v_sub_co_u32 v15, s1, v15, v3
	s_wait_alu 0xf1ff
	v_sub_co_ci_u32_e64 v16, null, 0, 0, s1
	v_or_b32_e32 v3, 0x10000000, v0
	v_lshlrev_b64_e32 v[15:16], 1, v[15:16]
	s_delay_alu instid0(VALU_DEP_1) | instskip(NEXT) | instid1(VALU_DEP_1)
	v_or_b32_e32 v15, 1, v15
	v_cmp_lt_u64_e32 vcc_lo, v[15:16], v[27:28]
	s_wait_alu 0xfffd
	v_cndmask_b32_e32 v0, v3, v0, vcc_lo
	v_cndmask_b32_e64 v3, v27, 0, vcc_lo
	s_delay_alu instid0(VALU_DEP_1) | instskip(SKIP_3) | instid1(VALU_DEP_2)
	v_sub_co_u32 v15, vcc_lo, v15, v3
	s_wait_alu 0xfffd
	v_subrev_co_ci_u32_e64 v16, null, 0, v16, vcc_lo
	v_or_b32_e32 v3, 0x8000000, v0
	v_lshlrev_b64_e32 v[15:16], 1, v[15:16]
	s_delay_alu instid0(VALU_DEP_1) | instskip(NEXT) | instid1(VALU_DEP_1)
	v_or_b32_e32 v15, 1, v15
	v_cmp_lt_u64_e32 vcc_lo, v[15:16], v[27:28]
	s_wait_alu 0xfffd
	v_cndmask_b32_e32 v0, v3, v0, vcc_lo
	v_cndmask_b32_e64 v3, v27, 0, vcc_lo
	s_delay_alu instid0(VALU_DEP_1) | instskip(SKIP_3) | instid1(VALU_DEP_2)
	v_sub_co_u32 v15, vcc_lo, v15, v3
	s_wait_alu 0xfffd
	v_subrev_co_ci_u32_e64 v16, null, 0, v16, vcc_lo
	;; [unrolled: 12-line block ×28, first 2 shown]
	v_or_b32_e32 v3, 1, v0
	v_lshlrev_b64_e32 v[15:16], 1, v[15:16]
	s_delay_alu instid0(VALU_DEP_1) | instskip(NEXT) | instid1(VALU_DEP_1)
	v_or_b32_e32 v15, 1, v15
	v_cmp_lt_u64_e32 vcc_lo, v[15:16], v[27:28]
	s_wait_alu 0xfffd
	v_cndmask_b32_e32 v30, v3, v0, vcc_lo
	v_cndmask_b32_e64 v0, v27, 0, vcc_lo
	s_delay_alu instid0(VALU_DEP_1) | instskip(SKIP_2) | instid1(VALU_DEP_1)
	v_sub_co_u32 v15, vcc_lo, v15, v0
	s_wait_alu 0xfffd
	v_subrev_co_ci_u32_e64 v16, null, 0, v16, vcc_lo
	v_lshlrev_b64_e32 v[15:16], 1, v[15:16]
	s_delay_alu instid0(VALU_DEP_1) | instskip(NEXT) | instid1(VALU_DEP_1)
	v_or_b32_e32 v15, 1, v15
	v_cmp_lt_u64_e32 vcc_lo, v[15:16], v[27:28]
	s_wait_alu 0xfffd
	v_cndmask_b32_e64 v0, -|v2|, v2, vcc_lo
	v_cndmask_b32_e64 v2, v27, 0, vcc_lo
	s_delay_alu instid0(VALU_DEP_1) | instskip(SKIP_3) | instid1(VALU_DEP_2)
	v_sub_co_u32 v2, vcc_lo, v15, v2
	s_wait_alu 0xfffd
	v_subrev_co_ci_u32_e64 v3, null, 0, v16, vcc_lo
	v_or_b32_e32 v15, 2.0, v0
	v_lshlrev_b64_e32 v[2:3], 1, v[2:3]
	s_delay_alu instid0(VALU_DEP_1) | instskip(NEXT) | instid1(VALU_DEP_1)
	v_or_b32_e32 v2, 1, v2
	v_cmp_lt_u64_e32 vcc_lo, v[2:3], v[27:28]
	s_wait_alu 0xfffd
	v_cndmask_b32_e32 v0, v15, v0, vcc_lo
	v_cndmask_b32_e64 v15, v27, 0, vcc_lo
	s_delay_alu instid0(VALU_DEP_1) | instskip(SKIP_3) | instid1(VALU_DEP_2)
	v_sub_co_u32 v2, vcc_lo, v2, v15
	s_wait_alu 0xfffd
	v_subrev_co_ci_u32_e64 v3, null, 0, v3, vcc_lo
	v_or_b32_e32 v15, 0x20000000, v0
	v_lshlrev_b64_e32 v[2:3], 1, v[2:3]
	s_delay_alu instid0(VALU_DEP_1) | instskip(NEXT) | instid1(VALU_DEP_1)
	v_or_b32_e32 v2, 1, v2
	v_cmp_lt_u64_e32 vcc_lo, v[2:3], v[27:28]
	s_wait_alu 0xfffd
	v_cndmask_b32_e32 v0, v15, v0, vcc_lo
	v_cndmask_b32_e64 v15, v27, 0, vcc_lo
	s_delay_alu instid0(VALU_DEP_1) | instskip(SKIP_3) | instid1(VALU_DEP_2)
	v_sub_co_u32 v2, vcc_lo, v2, v15
	s_wait_alu 0xfffd
	v_subrev_co_ci_u32_e64 v3, null, 0, v3, vcc_lo
	v_or_b32_e32 v15, 0x10000000, v0
	v_lshlrev_b64_e32 v[2:3], 1, v[2:3]
	s_delay_alu instid0(VALU_DEP_1) | instskip(NEXT) | instid1(VALU_DEP_1)
	v_or_b32_e32 v2, 1, v2
	v_cmp_lt_u64_e32 vcc_lo, v[2:3], v[27:28]
	s_wait_alu 0xfffd
	v_cndmask_b32_e32 v0, v15, v0, vcc_lo
	v_cndmask_b32_e64 v15, v27, 0, vcc_lo
	s_delay_alu instid0(VALU_DEP_1) | instskip(SKIP_3) | instid1(VALU_DEP_2)
	v_sub_co_u32 v2, vcc_lo, v2, v15
	s_wait_alu 0xfffd
	v_subrev_co_ci_u32_e64 v3, null, 0, v3, vcc_lo
	v_or_b32_e32 v15, 0x8000000, v0
	v_lshlrev_b64_e32 v[2:3], 1, v[2:3]
	s_delay_alu instid0(VALU_DEP_1) | instskip(NEXT) | instid1(VALU_DEP_1)
	v_or_b32_e32 v2, 1, v2
	v_cmp_lt_u64_e32 vcc_lo, v[2:3], v[27:28]
	s_wait_alu 0xfffd
	v_cndmask_b32_e32 v0, v15, v0, vcc_lo
	v_cndmask_b32_e64 v15, v27, 0, vcc_lo
	s_delay_alu instid0(VALU_DEP_1) | instskip(SKIP_3) | instid1(VALU_DEP_2)
	v_sub_co_u32 v2, vcc_lo, v2, v15
	s_wait_alu 0xfffd
	v_subrev_co_ci_u32_e64 v3, null, 0, v3, vcc_lo
	v_or_b32_e32 v15, 0x4000000, v0
	v_lshlrev_b64_e32 v[2:3], 1, v[2:3]
	s_delay_alu instid0(VALU_DEP_1) | instskip(NEXT) | instid1(VALU_DEP_1)
	v_or_b32_e32 v2, 1, v2
	v_cmp_lt_u64_e32 vcc_lo, v[2:3], v[27:28]
	s_wait_alu 0xfffd
	v_cndmask_b32_e32 v0, v15, v0, vcc_lo
	v_cndmask_b32_e64 v15, v27, 0, vcc_lo
	s_delay_alu instid0(VALU_DEP_1) | instskip(SKIP_3) | instid1(VALU_DEP_2)
	v_sub_co_u32 v2, vcc_lo, v2, v15
	s_wait_alu 0xfffd
	v_subrev_co_ci_u32_e64 v3, null, 0, v3, vcc_lo
	v_or_b32_e32 v15, 0x2000000, v0
	v_lshlrev_b64_e32 v[2:3], 1, v[2:3]
	s_delay_alu instid0(VALU_DEP_1) | instskip(NEXT) | instid1(VALU_DEP_1)
	v_or_b32_e32 v2, 1, v2
	v_cmp_lt_u64_e32 vcc_lo, v[2:3], v[27:28]
	s_wait_alu 0xfffd
	v_cndmask_b32_e32 v0, v15, v0, vcc_lo
	v_cndmask_b32_e64 v15, v27, 0, vcc_lo
	s_delay_alu instid0(VALU_DEP_1) | instskip(SKIP_3) | instid1(VALU_DEP_2)
	v_sub_co_u32 v2, vcc_lo, v2, v15
	s_wait_alu 0xfffd
	v_subrev_co_ci_u32_e64 v3, null, 0, v3, vcc_lo
	v_or_b32_e32 v15, 0x1000000, v0
	v_lshlrev_b64_e32 v[2:3], 1, v[2:3]
	s_delay_alu instid0(VALU_DEP_1) | instskip(NEXT) | instid1(VALU_DEP_1)
	v_or_b32_e32 v2, 1, v2
	v_cmp_lt_u64_e32 vcc_lo, v[2:3], v[27:28]
	s_wait_alu 0xfffd
	v_cndmask_b32_e32 v0, v15, v0, vcc_lo
	v_cndmask_b32_e64 v15, v27, 0, vcc_lo
	s_delay_alu instid0(VALU_DEP_1) | instskip(SKIP_3) | instid1(VALU_DEP_2)
	v_sub_co_u32 v2, vcc_lo, v2, v15
	s_wait_alu 0xfffd
	v_subrev_co_ci_u32_e64 v3, null, 0, v3, vcc_lo
	v_or_b32_e32 v15, 0x800000, v0
	v_lshlrev_b64_e32 v[2:3], 1, v[2:3]
	s_delay_alu instid0(VALU_DEP_1) | instskip(NEXT) | instid1(VALU_DEP_1)
	v_or_b32_e32 v2, 1, v2
	v_cmp_lt_u64_e32 vcc_lo, v[2:3], v[27:28]
	s_wait_alu 0xfffd
	v_cndmask_b32_e32 v0, v15, v0, vcc_lo
	v_cndmask_b32_e64 v15, v27, 0, vcc_lo
	s_delay_alu instid0(VALU_DEP_1) | instskip(SKIP_3) | instid1(VALU_DEP_2)
	v_sub_co_u32 v2, vcc_lo, v2, v15
	s_wait_alu 0xfffd
	v_subrev_co_ci_u32_e64 v3, null, 0, v3, vcc_lo
	v_or_b32_e32 v15, 0x400000, v0
	v_lshlrev_b64_e32 v[2:3], 1, v[2:3]
	s_delay_alu instid0(VALU_DEP_1) | instskip(NEXT) | instid1(VALU_DEP_1)
	v_or_b32_e32 v2, 1, v2
	v_cmp_lt_u64_e32 vcc_lo, v[2:3], v[27:28]
	s_wait_alu 0xfffd
	v_cndmask_b32_e32 v0, v15, v0, vcc_lo
	v_cndmask_b32_e64 v15, v27, 0, vcc_lo
	s_delay_alu instid0(VALU_DEP_1) | instskip(SKIP_3) | instid1(VALU_DEP_2)
	v_sub_co_u32 v2, vcc_lo, v2, v15
	s_wait_alu 0xfffd
	v_subrev_co_ci_u32_e64 v3, null, 0, v3, vcc_lo
	v_or_b32_e32 v15, 0x200000, v0
	v_lshlrev_b64_e32 v[2:3], 1, v[2:3]
	s_delay_alu instid0(VALU_DEP_1) | instskip(NEXT) | instid1(VALU_DEP_1)
	v_or_b32_e32 v2, 1, v2
	v_cmp_lt_u64_e32 vcc_lo, v[2:3], v[27:28]
	s_wait_alu 0xfffd
	v_cndmask_b32_e32 v0, v15, v0, vcc_lo
	v_cndmask_b32_e64 v15, v27, 0, vcc_lo
	s_delay_alu instid0(VALU_DEP_1) | instskip(SKIP_3) | instid1(VALU_DEP_2)
	v_sub_co_u32 v2, vcc_lo, v2, v15
	s_wait_alu 0xfffd
	v_subrev_co_ci_u32_e64 v3, null, 0, v3, vcc_lo
	v_or_b32_e32 v15, 0x100000, v0
	v_lshlrev_b64_e32 v[2:3], 1, v[2:3]
	s_delay_alu instid0(VALU_DEP_1) | instskip(NEXT) | instid1(VALU_DEP_1)
	v_or_b32_e32 v2, 1, v2
	v_cmp_lt_u64_e32 vcc_lo, v[2:3], v[27:28]
	s_wait_alu 0xfffd
	v_cndmask_b32_e32 v0, v15, v0, vcc_lo
	v_cndmask_b32_e64 v15, v27, 0, vcc_lo
	s_delay_alu instid0(VALU_DEP_1) | instskip(SKIP_3) | instid1(VALU_DEP_2)
	v_sub_co_u32 v2, vcc_lo, v2, v15
	s_wait_alu 0xfffd
	v_subrev_co_ci_u32_e64 v3, null, 0, v3, vcc_lo
	v_or_b32_e32 v15, 0x80000, v0
	v_lshlrev_b64_e32 v[2:3], 1, v[2:3]
	s_delay_alu instid0(VALU_DEP_1) | instskip(NEXT) | instid1(VALU_DEP_1)
	v_or_b32_e32 v2, 1, v2
	v_cmp_lt_u64_e32 vcc_lo, v[2:3], v[27:28]
	s_wait_alu 0xfffd
	v_cndmask_b32_e32 v0, v15, v0, vcc_lo
	v_cndmask_b32_e64 v15, v27, 0, vcc_lo
	s_delay_alu instid0(VALU_DEP_1) | instskip(SKIP_3) | instid1(VALU_DEP_2)
	v_sub_co_u32 v2, vcc_lo, v2, v15
	s_wait_alu 0xfffd
	v_subrev_co_ci_u32_e64 v3, null, 0, v3, vcc_lo
	v_or_b32_e32 v15, 0x40000, v0
	v_lshlrev_b64_e32 v[2:3], 1, v[2:3]
	s_delay_alu instid0(VALU_DEP_1) | instskip(NEXT) | instid1(VALU_DEP_1)
	v_or_b32_e32 v2, 1, v2
	v_cmp_lt_u64_e32 vcc_lo, v[2:3], v[27:28]
	s_wait_alu 0xfffd
	v_cndmask_b32_e32 v0, v15, v0, vcc_lo
	v_cndmask_b32_e64 v15, v27, 0, vcc_lo
	s_delay_alu instid0(VALU_DEP_1) | instskip(SKIP_3) | instid1(VALU_DEP_2)
	v_sub_co_u32 v2, vcc_lo, v2, v15
	s_wait_alu 0xfffd
	v_subrev_co_ci_u32_e64 v3, null, 0, v3, vcc_lo
	v_or_b32_e32 v15, 0x20000, v0
	v_lshlrev_b64_e32 v[2:3], 1, v[2:3]
	s_delay_alu instid0(VALU_DEP_1) | instskip(NEXT) | instid1(VALU_DEP_1)
	v_or_b32_e32 v2, 1, v2
	v_cmp_lt_u64_e32 vcc_lo, v[2:3], v[27:28]
	s_wait_alu 0xfffd
	v_cndmask_b32_e32 v0, v15, v0, vcc_lo
	v_cndmask_b32_e64 v15, v27, 0, vcc_lo
	s_delay_alu instid0(VALU_DEP_1) | instskip(SKIP_3) | instid1(VALU_DEP_2)
	v_sub_co_u32 v2, vcc_lo, v2, v15
	s_wait_alu 0xfffd
	v_subrev_co_ci_u32_e64 v3, null, 0, v3, vcc_lo
	v_or_b32_e32 v15, 0x10000, v0
	v_lshlrev_b64_e32 v[2:3], 1, v[2:3]
	s_delay_alu instid0(VALU_DEP_1) | instskip(NEXT) | instid1(VALU_DEP_1)
	v_or_b32_e32 v2, 1, v2
	v_cmp_lt_u64_e32 vcc_lo, v[2:3], v[27:28]
	s_wait_alu 0xfffd
	v_cndmask_b32_e32 v0, v15, v0, vcc_lo
	v_cndmask_b32_e64 v15, v27, 0, vcc_lo
	s_delay_alu instid0(VALU_DEP_1) | instskip(SKIP_3) | instid1(VALU_DEP_2)
	v_sub_co_u32 v2, vcc_lo, v2, v15
	s_wait_alu 0xfffd
	v_subrev_co_ci_u32_e64 v3, null, 0, v3, vcc_lo
	v_or_b32_e32 v15, 0x8000, v0
	v_lshlrev_b64_e32 v[2:3], 1, v[2:3]
	s_delay_alu instid0(VALU_DEP_1) | instskip(NEXT) | instid1(VALU_DEP_1)
	v_or_b32_e32 v2, 1, v2
	v_cmp_lt_u64_e32 vcc_lo, v[2:3], v[27:28]
	s_wait_alu 0xfffd
	v_cndmask_b32_e32 v0, v15, v0, vcc_lo
	v_cndmask_b32_e64 v15, v27, 0, vcc_lo
	s_delay_alu instid0(VALU_DEP_1) | instskip(SKIP_3) | instid1(VALU_DEP_2)
	v_sub_co_u32 v2, vcc_lo, v2, v15
	s_wait_alu 0xfffd
	v_subrev_co_ci_u32_e64 v3, null, 0, v3, vcc_lo
	v_or_b32_e32 v15, 0x4000, v0
	v_lshlrev_b64_e32 v[2:3], 1, v[2:3]
	s_delay_alu instid0(VALU_DEP_1) | instskip(NEXT) | instid1(VALU_DEP_1)
	v_or_b32_e32 v2, 1, v2
	v_cmp_lt_u64_e32 vcc_lo, v[2:3], v[27:28]
	s_wait_alu 0xfffd
	v_cndmask_b32_e32 v0, v15, v0, vcc_lo
	v_cndmask_b32_e64 v15, v27, 0, vcc_lo
	s_delay_alu instid0(VALU_DEP_1) | instskip(SKIP_3) | instid1(VALU_DEP_2)
	v_sub_co_u32 v2, vcc_lo, v2, v15
	s_wait_alu 0xfffd
	v_subrev_co_ci_u32_e64 v3, null, 0, v3, vcc_lo
	v_or_b32_e32 v15, 0x2000, v0
	v_lshlrev_b64_e32 v[2:3], 1, v[2:3]
	s_delay_alu instid0(VALU_DEP_1) | instskip(NEXT) | instid1(VALU_DEP_1)
	v_or_b32_e32 v2, 1, v2
	v_cmp_lt_u64_e32 vcc_lo, v[2:3], v[27:28]
	s_wait_alu 0xfffd
	v_cndmask_b32_e32 v0, v15, v0, vcc_lo
	v_cndmask_b32_e64 v15, v27, 0, vcc_lo
	s_delay_alu instid0(VALU_DEP_1) | instskip(SKIP_3) | instid1(VALU_DEP_2)
	v_sub_co_u32 v2, vcc_lo, v2, v15
	s_wait_alu 0xfffd
	v_subrev_co_ci_u32_e64 v3, null, 0, v3, vcc_lo
	v_or_b32_e32 v15, 0x1000, v0
	v_lshlrev_b64_e32 v[2:3], 1, v[2:3]
	s_delay_alu instid0(VALU_DEP_1) | instskip(NEXT) | instid1(VALU_DEP_1)
	v_or_b32_e32 v2, 1, v2
	v_cmp_lt_u64_e32 vcc_lo, v[2:3], v[27:28]
	s_wait_alu 0xfffd
	v_cndmask_b32_e32 v0, v15, v0, vcc_lo
	v_cndmask_b32_e64 v15, v27, 0, vcc_lo
	s_delay_alu instid0(VALU_DEP_1) | instskip(SKIP_3) | instid1(VALU_DEP_2)
	v_sub_co_u32 v2, vcc_lo, v2, v15
	s_wait_alu 0xfffd
	v_subrev_co_ci_u32_e64 v3, null, 0, v3, vcc_lo
	v_or_b32_e32 v15, 0x800, v0
	v_lshlrev_b64_e32 v[2:3], 1, v[2:3]
	s_delay_alu instid0(VALU_DEP_1) | instskip(NEXT) | instid1(VALU_DEP_1)
	v_or_b32_e32 v2, 1, v2
	v_cmp_lt_u64_e32 vcc_lo, v[2:3], v[27:28]
	s_wait_alu 0xfffd
	v_cndmask_b32_e32 v0, v15, v0, vcc_lo
	v_cndmask_b32_e64 v15, v27, 0, vcc_lo
	s_delay_alu instid0(VALU_DEP_1) | instskip(SKIP_3) | instid1(VALU_DEP_2)
	v_sub_co_u32 v2, vcc_lo, v2, v15
	s_wait_alu 0xfffd
	v_subrev_co_ci_u32_e64 v3, null, 0, v3, vcc_lo
	v_or_b32_e32 v15, 0x400, v0
	v_lshlrev_b64_e32 v[2:3], 1, v[2:3]
	s_delay_alu instid0(VALU_DEP_1) | instskip(NEXT) | instid1(VALU_DEP_1)
	v_or_b32_e32 v2, 1, v2
	v_cmp_lt_u64_e32 vcc_lo, v[2:3], v[27:28]
	s_wait_alu 0xfffd
	v_cndmask_b32_e32 v0, v15, v0, vcc_lo
	v_cndmask_b32_e64 v15, v27, 0, vcc_lo
	s_delay_alu instid0(VALU_DEP_1) | instskip(SKIP_3) | instid1(VALU_DEP_2)
	v_sub_co_u32 v2, vcc_lo, v2, v15
	s_wait_alu 0xfffd
	v_subrev_co_ci_u32_e64 v3, null, 0, v3, vcc_lo
	v_or_b32_e32 v15, 0x200, v0
	v_lshlrev_b64_e32 v[2:3], 1, v[2:3]
	s_delay_alu instid0(VALU_DEP_1) | instskip(NEXT) | instid1(VALU_DEP_1)
	v_or_b32_e32 v2, 1, v2
	v_cmp_lt_u64_e32 vcc_lo, v[2:3], v[27:28]
	s_wait_alu 0xfffd
	v_cndmask_b32_e32 v0, v15, v0, vcc_lo
	v_cndmask_b32_e64 v15, v27, 0, vcc_lo
	s_delay_alu instid0(VALU_DEP_1) | instskip(SKIP_3) | instid1(VALU_DEP_2)
	v_sub_co_u32 v2, vcc_lo, v2, v15
	s_wait_alu 0xfffd
	v_subrev_co_ci_u32_e64 v3, null, 0, v3, vcc_lo
	v_or_b32_e32 v15, 0x100, v0
	v_lshlrev_b64_e32 v[2:3], 1, v[2:3]
	s_delay_alu instid0(VALU_DEP_1) | instskip(NEXT) | instid1(VALU_DEP_1)
	v_or_b32_e32 v2, 1, v2
	v_cmp_lt_u64_e32 vcc_lo, v[2:3], v[27:28]
	s_wait_alu 0xfffd
	v_cndmask_b32_e32 v0, v15, v0, vcc_lo
	v_cndmask_b32_e64 v15, v27, 0, vcc_lo
	s_delay_alu instid0(VALU_DEP_1) | instskip(SKIP_3) | instid1(VALU_DEP_2)
	v_sub_co_u32 v2, vcc_lo, v2, v15
	s_wait_alu 0xfffd
	v_subrev_co_ci_u32_e64 v3, null, 0, v3, vcc_lo
	v_or_b32_e32 v15, 0x80, v0
	v_lshlrev_b64_e32 v[2:3], 1, v[2:3]
	s_delay_alu instid0(VALU_DEP_1) | instskip(NEXT) | instid1(VALU_DEP_1)
	v_or_b32_e32 v2, 1, v2
	v_cmp_lt_u64_e32 vcc_lo, v[2:3], v[27:28]
	s_wait_alu 0xfffd
	v_cndmask_b32_e32 v0, v15, v0, vcc_lo
	v_cndmask_b32_e64 v15, v27, 0, vcc_lo
	s_delay_alu instid0(VALU_DEP_1) | instskip(SKIP_3) | instid1(VALU_DEP_2)
	v_sub_co_u32 v2, vcc_lo, v2, v15
	s_wait_alu 0xfffd
	v_subrev_co_ci_u32_e64 v3, null, 0, v3, vcc_lo
	v_or_b32_e32 v15, 64, v0
	v_lshlrev_b64_e32 v[2:3], 1, v[2:3]
	s_delay_alu instid0(VALU_DEP_1) | instskip(NEXT) | instid1(VALU_DEP_1)
	v_or_b32_e32 v2, 1, v2
	v_cmp_lt_u64_e32 vcc_lo, v[2:3], v[27:28]
	s_wait_alu 0xfffd
	v_cndmask_b32_e32 v0, v15, v0, vcc_lo
	v_cndmask_b32_e64 v15, v27, 0, vcc_lo
	s_delay_alu instid0(VALU_DEP_1) | instskip(SKIP_3) | instid1(VALU_DEP_2)
	v_sub_co_u32 v2, vcc_lo, v2, v15
	s_wait_alu 0xfffd
	v_subrev_co_ci_u32_e64 v3, null, 0, v3, vcc_lo
	v_or_b32_e32 v15, 32, v0
	v_lshlrev_b64_e32 v[2:3], 1, v[2:3]
	s_delay_alu instid0(VALU_DEP_1) | instskip(NEXT) | instid1(VALU_DEP_1)
	v_or_b32_e32 v2, 1, v2
	v_cmp_lt_u64_e32 vcc_lo, v[2:3], v[27:28]
	s_wait_alu 0xfffd
	v_cndmask_b32_e32 v0, v15, v0, vcc_lo
	v_cndmask_b32_e64 v15, v27, 0, vcc_lo
	s_delay_alu instid0(VALU_DEP_1) | instskip(SKIP_3) | instid1(VALU_DEP_2)
	v_sub_co_u32 v2, vcc_lo, v2, v15
	s_wait_alu 0xfffd
	v_subrev_co_ci_u32_e64 v3, null, 0, v3, vcc_lo
	v_or_b32_e32 v15, 16, v0
	v_lshlrev_b64_e32 v[2:3], 1, v[2:3]
	s_delay_alu instid0(VALU_DEP_1) | instskip(NEXT) | instid1(VALU_DEP_1)
	v_or_b32_e32 v2, 1, v2
	v_cmp_lt_u64_e32 vcc_lo, v[2:3], v[27:28]
	s_wait_alu 0xfffd
	v_cndmask_b32_e32 v0, v15, v0, vcc_lo
	v_cndmask_b32_e64 v15, v27, 0, vcc_lo
	s_delay_alu instid0(VALU_DEP_1) | instskip(SKIP_3) | instid1(VALU_DEP_2)
	v_sub_co_u32 v2, vcc_lo, v2, v15
	s_wait_alu 0xfffd
	v_subrev_co_ci_u32_e64 v3, null, 0, v3, vcc_lo
	v_or_b32_e32 v15, 8, v0
	v_lshlrev_b64_e32 v[2:3], 1, v[2:3]
	s_delay_alu instid0(VALU_DEP_1) | instskip(NEXT) | instid1(VALU_DEP_1)
	v_or_b32_e32 v2, 1, v2
	v_cmp_lt_u64_e32 vcc_lo, v[2:3], v[27:28]
	s_wait_alu 0xfffd
	v_cndmask_b32_e32 v0, v15, v0, vcc_lo
	v_cndmask_b32_e64 v15, v27, 0, vcc_lo
	s_delay_alu instid0(VALU_DEP_1) | instskip(SKIP_3) | instid1(VALU_DEP_2)
	v_sub_co_u32 v2, vcc_lo, v2, v15
	s_wait_alu 0xfffd
	v_subrev_co_ci_u32_e64 v3, null, 0, v3, vcc_lo
	v_or_b32_e32 v15, 4, v0
	v_lshlrev_b64_e32 v[2:3], 1, v[2:3]
	s_delay_alu instid0(VALU_DEP_1) | instskip(NEXT) | instid1(VALU_DEP_1)
	v_or_b32_e32 v2, 1, v2
	v_cmp_lt_u64_e32 vcc_lo, v[2:3], v[27:28]
	s_wait_alu 0xfffd
	v_cndmask_b32_e32 v0, v15, v0, vcc_lo
	v_cndmask_b32_e64 v15, v27, 0, vcc_lo
	s_delay_alu instid0(VALU_DEP_1) | instskip(SKIP_3) | instid1(VALU_DEP_2)
	v_sub_co_u32 v2, vcc_lo, v2, v15
	s_wait_alu 0xfffd
	v_subrev_co_ci_u32_e64 v3, null, 0, v3, vcc_lo
	v_or_b32_e32 v15, 2, v0
	v_lshlrev_b64_e32 v[2:3], 1, v[2:3]
	s_delay_alu instid0(VALU_DEP_1) | instskip(NEXT) | instid1(VALU_DEP_1)
	v_or_b32_e32 v2, 1, v2
	v_cmp_lt_u64_e32 vcc_lo, v[2:3], v[27:28]
	s_wait_alu 0xfffd
	v_cndmask_b32_e32 v0, v15, v0, vcc_lo
	v_cndmask_b32_e64 v15, v27, 0, vcc_lo
	s_delay_alu instid0(VALU_DEP_1) | instskip(SKIP_2) | instid1(VALU_DEP_1)
	v_sub_co_u32 v2, vcc_lo, v2, v15
	s_wait_alu 0xfffd
	v_subrev_co_ci_u32_e64 v3, null, 0, v3, vcc_lo
	v_lshlrev_b64_e32 v[2:3], 1, v[2:3]
	s_delay_alu instid0(VALU_DEP_1) | instskip(NEXT) | instid1(VALU_DEP_1)
	v_or_b32_e32 v2, 1, v2
	v_cmp_ge_u64_e32 vcc_lo, v[2:3], v[27:28]
	s_wait_alu 0xfffd
	v_cndmask_b32_e64 v2, 0, 1, vcc_lo
	s_delay_alu instid0(VALU_DEP_1)
	v_or_b32_e32 v29, v0, v2
.LBB2_12:
	s_wait_alu 0xfffe
	s_or_b32 exec_lo, exec_lo, s0
	s_load_b32 s0, s[8:9], 0x0
	v_dual_mov_b32 v3, 0 :: v_dual_and_b32 v50, 31, v4
	s_mov_b32 s1, 0
	s_wait_loadcnt_dscnt 0x0
	v_lshrrev_b64 v[13:14], 31, v[13:14]
	v_mov_b32_e32 v32, 0
	v_mov_b32_e32 v33, 0
	s_delay_alu instid0(VALU_DEP_3) | instskip(NEXT) | instid1(VALU_DEP_1)
	v_and_b32_e32 v13, 3, v13
	v_and_b32_e32 v15, 0xffff, v13
	s_wait_kmcnt 0x0
	s_cmp_lt_u32 ttmp9, s0
	s_cselect_b32 s0, 12, 18
	s_wait_alu 0xfffe
	s_add_nc_u64 s[2:3], s[8:9], s[0:1]
	v_cmp_eq_u32_e64 s0, 0, v50
	global_load_u16 v0, v3, s[2:3]
	s_trap 2
	s_wait_loadcnt 0x0
	ds_load_b32 v2, v0
	s_wait_dscnt 0x0
	v_cmp_gt_i32_e32 vcc_lo, 0, v2
	v_readfirstlane_b32 s2, v2
	s_cbranch_vccnz .LBB2_14
; %bb.13:
	s_trap 2
	ds_load_b64 v[13:14], v0
	v_lshlrev_b64_e32 v[2:3], 3, v[2:3]
	s_mov_b32 s1, 1
	s_wait_dscnt 0x0
	s_delay_alu instid0(VALU_DEP_1) | instskip(SKIP_1) | instid1(VALU_DEP_2)
	v_add_co_u32 v2, vcc_lo, v13, v2
	s_wait_alu 0xfffd
	v_add_co_ci_u32_e64 v3, null, v14, v3, vcc_lo
	flat_load_b64 v[2:3], v[2:3]
	s_wait_loadcnt_dscnt 0x0
	v_mad_co_u64_u32 v[2:3], null, 0xa8, v15, v[2:3]
	s_clause 0x1
	flat_load_b64 v[36:37], v[2:3] offset:504
	flat_load_b64 v[38:39], v[2:3] offset:608
	v_add_co_u32 v34, vcc_lo, 0x1f8, v2
	s_wait_alu 0xfffd
	v_add_co_ci_u32_e64 v35, null, 0, v3, vcc_lo
	s_wait_alu 0xf1ff
	s_delay_alu instid0(VALU_DEP_2) | instskip(NEXT) | instid1(VALU_DEP_2)
	v_cndmask_b32_e64 v2, 0, v34, s0
	v_cndmask_b32_e64 v3, 0, v35, s0
	s_branch .LBB2_15
.LBB2_14:
	v_mov_b32_e32 v34, 0
	v_dual_mov_b32 v35, 0 :: v_dual_mov_b32 v2, 0
	v_mov_b32_e32 v3, 0
                                        ; implicit-def: $vgpr38_vgpr39
                                        ; implicit-def: $vgpr36_vgpr37
.LBB2_15:
	s_trap 2
	ds_load_b32 v13, v0
	s_wait_dscnt 0x0
	v_cmp_gt_i32_e32 vcc_lo, 0, v13
	s_cbranch_vccnz .LBB2_17
; %bb.16:
	s_trap 2
	ds_load_b64 v[21:22], v0
	v_mov_b32_e32 v14, 0
	s_delay_alu instid0(VALU_DEP_1) | instskip(SKIP_1) | instid1(VALU_DEP_1)
	v_lshlrev_b64_e32 v[13:14], 3, v[13:14]
	s_wait_dscnt 0x0
	v_add_co_u32 v13, vcc_lo, v21, v13
	s_wait_alu 0xfffd
	s_delay_alu instid0(VALU_DEP_2)
	v_add_co_ci_u32_e64 v14, null, v22, v14, vcc_lo
	v_cmp_eq_u32_e32 vcc_lo, 0, v50
	flat_load_b64 v[13:14], v[13:14]
	s_wait_loadcnt_dscnt 0x0
	v_mad_co_u64_u32 v[32:33], null, 0xa8, v15, v[13:14]
	s_clause 0x1
	flat_load_b64 v[48:49], v[32:33]
	flat_load_b64 v[21:22], v[32:33] offset:104
	s_wait_alu 0xfffd
	v_dual_cndmask_b32 v16, 0, v33 :: v_dual_cndmask_b32 v15, 0, v32
	s_branch .LBB2_18
.LBB2_17:
	v_mov_b32_e32 v15, 0
	v_mov_b32_e32 v16, 0
                                        ; implicit-def: $vgpr21_vgpr22
                                        ; implicit-def: $vgpr48_vgpr49
.LBB2_18:
	v_subrev_nc_u32_e32 v13, 32, v1
	s_wait_alu 0xfffe
	v_cmp_gt_u32_e32 vcc_lo, s1, v50
                                        ; implicit-def: $vgpr50_vgpr51
	v_mov_b32_e32 v52, 0
	v_mov_b32_e32 v53, 0
	v_cmp_ge_i32_e64 s0, v4, v13
	v_mov_b32_e32 v13, 0
	v_mov_b32_e32 v14, 0
	s_and_b32 s16, s0, vcc_lo
	s_wait_alu 0xfffe
	s_and_saveexec_b32 s0, s16
	s_cbranch_execz .LBB2_20
; %bb.19:
	s_clause 0x1
	flat_load_b64 v[52:53], v[2:3] offset:56
	flat_load_b64 v[50:51], v[2:3] offset:104
.LBB2_20:
	s_wait_alu 0xfffe
	s_or_b32 exec_lo, exec_lo, s0
	v_mov_b32_e32 v54, 0
	v_mov_b32_e32 v55, 0
	v_cmp_gt_u32_e64 s0, s1, v4
                                        ; implicit-def: $vgpr64_vgpr65
	s_and_saveexec_b32 s1, s0
	s_cbranch_execz .LBB2_22
; %bb.21:
	flat_load_b64 v[54:55], v[15:16] offset:56
	s_wait_loadcnt_dscnt 0x0
	flat_load_b64 v[64:65], v[54:55] scope:SCOPE_SYS
	s_wait_loadcnt 0x0
	flat_load_b128 v[13:16], v[15:16] offset:96
.LBB2_22:
	s_wait_alu 0xfffe
	s_or_b32 exec_lo, exec_lo, s1
	v_mov_b32_e32 v2, 0
	v_dual_mov_b32 v3, 0 :: v_dual_and_b32 v0, 0xffff, v0
	s_mov_b32 s17, exec_lo
	v_cmpx_ne_u64_e32 0, v[7:8]
	s_cbranch_execnz .LBB2_38
; %bb.23:
	s_wait_alu 0xfffe
	s_or_b32 exec_lo, exec_lo, s17
	s_and_saveexec_b32 s1, s16
	s_cbranch_execnz .LBB2_206
.LBB2_24:
	s_wait_alu 0xfffe
	s_or_b32 exec_lo, exec_lo, s1
	s_and_saveexec_b32 s1, s0
	s_cbranch_execz .LBB2_26
.LBB2_25:
	s_wait_loadcnt_dscnt 0x0
	flat_store_b64 v[32:33], v[15:16] offset:104
.LBB2_26:
	s_wait_alu 0xfffe
	s_or_b32 exec_lo, exec_lo, s1
	s_delay_alu instid0(SALU_CYCLE_1)
	s_mov_b32 s0, exec_lo
	v_cmpx_ne_u32_e32 32, v1
	s_cbranch_execz .LBB2_213
; %bb.27:
	s_mov_b32 s1, exec_lo
	v_cmpx_ne_u32_e64 v1, v0
	s_wait_alu 0xfffe
	s_xor_b32 s1, exec_lo, s1
	s_cbranch_execz .LBB2_211
; %bb.28:
	v_and_b32_e32 v0, 31, v31
	s_mov_b32 s2, exec_lo
	s_delay_alu instid0(VALU_DEP_1)
	v_cmpx_eq_u32_e32 0, v0
	s_cbranch_execz .LBB2_210
; %bb.29:
	s_mov_b32 s4, exec_lo
	s_mov_b32 s3, exec_lo
	s_wait_alu 0xfffe
	v_mbcnt_lo_u32_b32 v0, s4, 0
	s_wait_storecnt 0x0
	s_wait_loadcnt_dscnt 0x0
	global_inv scope:SCOPE_DEV
	v_cmpx_eq_u32_e32 0, v0
	s_cbranch_execz .LBB2_31
; %bb.30:
	s_bcnt1_i32_b32 s4, s4
	s_wait_alu 0xfffe
	v_dual_mov_b32 v5, 0 :: v_dual_mov_b32 v4, s4
	s_wait_loadcnt 0x0
	ds_add_u64 v0, v[4:5]
	s_trap 2
.LBB2_31:
	s_or_b32 exec_lo, exec_lo, s3
	s_trap 2
	ds_load_b64 v[4:5], v0
	s_wait_dscnt 0x0
	global_inv scope:SCOPE_SE
	v_lshrrev_b32_e32 v0, 5, v1
	s_mov_b32 s3, exec_lo
	s_delay_alu instid0(VALU_DEP_1) | instskip(SKIP_2) | instid1(VALU_DEP_1)
	v_add_co_u32 v0, vcc_lo, v2, v0
	s_wait_alu 0xfffd
	v_add_co_ci_u32_e64 v1, null, 0, v3, vcc_lo
	v_cmpx_lt_u64_e64 v[4:5], v[0:1]
	s_cbranch_execz .LBB2_209
; %bb.32:
	s_mov_b32 s4, 0
	s_mov_b32 s7, 0
                                        ; implicit-def: $sgpr5
                                        ; implicit-def: $sgpr6
	s_branch .LBB2_34
.LBB2_33:                               ;   in Loop: Header=BB2_34 Depth=1
	s_wait_alu 0xfffe
	s_or_b32 exec_lo, exec_lo, s9
	s_delay_alu instid0(SALU_CYCLE_1)
	s_and_b32 s8, exec_lo, s10
	s_wait_alu 0xfffe
	s_or_b32 s4, s8, s4
	s_and_not1_b32 s5, s5, exec_lo
	s_and_b32 s8, s6, exec_lo
	s_wait_alu 0xfffe
	s_or_b32 s5, s5, s8
	s_and_not1_b32 exec_lo, exec_lo, s4
	s_cbranch_execz .LBB2_207
.LBB2_34:                               ; =>This Inner Loop Header: Depth=1
	s_wait_alu 0xfffe
	s_add_co_i32 s7, s7, 1
	s_wait_alu 0xfffe
	s_cmp_lg_u32 s7, 0x2710
	s_cselect_b32 s8, -1, 0
	s_wait_alu 0xfffe
	s_and_b32 vcc_lo, exec_lo, s8
	s_wait_alu 0xfffe
	s_cbranch_vccz .LBB2_36
; %bb.35:                               ;   in Loop: Header=BB2_34 Depth=1
	s_mov_b32 s10, -1
	s_or_b32 s6, s6, exec_lo
	s_and_saveexec_b32 s9, s8
	s_cbranch_execz .LBB2_33
	s_branch .LBB2_37
.LBB2_36:                               ;   in Loop: Header=BB2_34 Depth=1
	s_trap 2
	ds_load_b64 v[2:3], v0
	s_and_not1_b32 s8, s8, exec_lo
	s_mov_b32 s7, 0
	s_wait_loadcnt_dscnt 0x0
	flat_load_b32 v2, v[2:3] scope:SCOPE_SYS
	s_wait_loadcnt_dscnt 0x0
	global_inv scope:SCOPE_SYS
	v_cmp_eq_u32_e32 vcc_lo, 0, v2
	s_and_b32 s9, vcc_lo, exec_lo
	s_wait_alu 0xfffe
	s_or_b32 s8, s8, s9
	s_mov_b32 s10, -1
	s_or_b32 s6, s6, exec_lo
	s_wait_alu 0xfffe
	s_and_saveexec_b32 s9, s8
	s_cbranch_execz .LBB2_33
.LBB2_37:                               ;   in Loop: Header=BB2_34 Depth=1
	s_sleep 1
	s_trap 2
	ds_load_b64 v[2:3], v0
	s_wait_dscnt 0x0
	global_inv scope:SCOPE_SE
	s_wait_alu 0xfffe
	s_and_not1_b32 s6, s6, exec_lo
	v_cmp_ge_u64_e32 vcc_lo, v[2:3], v[0:1]
	s_or_not1_b32 s10, vcc_lo, exec_lo
	s_branch .LBB2_33
.LBB2_38:
	v_dual_mov_b32 v67, 0 :: v_dual_and_b32 v68, 0x3ffffe, v17
	v_add_co_u32 v2, vcc_lo, v19, v5
	s_wait_alu 0xfffd
	v_add_co_ci_u32_e64 v3, null, v20, v6, vcc_lo
	s_delay_alu instid0(VALU_DEP_3) | instskip(NEXT) | instid1(VALU_DEP_3)
	v_dual_mov_b32 v69, v67 :: v_dual_mov_b32 v82, 0
	v_add_co_u32 v70, vcc_lo, v2, v66
	v_dual_mov_b32 v83, 0 :: v_dual_and_b32 v2, 31, v31
	v_mov_b32_e32 v5, v67
	s_ashr_i32 s1, s2, 31
	s_ashr_i32 s13, s12, 31
	s_wait_alu 0xfffe
	s_lshr_b32 s1, s1, 29
	v_cmp_eq_u32_e64 s5, 0, v2
	s_wait_alu 0xfffe
	s_add_co_i32 s2, s2, s1
	v_mov_b32_e32 v2, v67
	v_lshlrev_b64_e32 v[84:85], 3, v[4:5]
	s_wait_alu 0xfffe
	s_ashr_i32 s18, s2, 7
	s_lshl_b64 s[2:3], s[12:13], 2
	s_wait_alu 0xfffd
	v_add_co_ci_u32_e64 v71, null, v3, v71, vcc_lo
	s_wait_alu 0xfffe
	v_add_co_u32 v80, vcc_lo, v23, s2
	v_lshlrev_b64_e32 v[19:20], 3, v[25:26]
	s_wait_alu 0xfffd
	v_add_co_ci_u32_e64 v81, null, s3, v24, vcc_lo
	v_add_co_u32 v119, vcc_lo, v11, v84
	s_wait_alu 0xfffd
	v_add_co_ci_u32_e64 v128, null, v12, v85, vcc_lo
	v_add_co_u32 v129, vcc_lo, v9, v84
	;; [unrolled: 3-line block ×3, first 2 shown]
	v_and_b32_e32 v66, 7, v9
	v_cmp_gt_i32_e64 s8, 0, v18
	v_dual_mov_b32 v134, 1 :: v_dual_lshlrev_b32 v9, 3, v17
	v_lshlrev_b64_e32 v[17:18], 4, v[4:5]
	s_wait_alu 0xfffd
	v_add_co_ci_u32_e64 v6, null, v20, v85, vcc_lo
	v_add_co_u32 v5, vcc_lo, v11, v3
	v_and_b32_e32 v131, 0x1fffff0, v9
	s_wait_alu 0xfffd
	s_delay_alu instid0(VALU_DEP_3)
	v_add_co_ci_u32_e64 v6, null, v12, v6, vcc_lo
	v_lshlrev_b64_e32 v[86:87], 3, v[1:2]
	s_wait_loadcnt_dscnt 0x101
	v_add_co_u32 v132, vcc_lo, v48, v17
	v_lshlrev_b64_e32 v[96:97], 4, v[1:2]
	v_mov_b32_e32 v2, 0
	v_cmp_ne_u64_e64 s1, 0, v[54:55]
	s_wait_loadcnt_dscnt 0x0
	v_cmp_ne_u64_e64 s2, 0, v[13:14]
	v_cmp_ne_u64_e64 s6, 0, v[52:53]
	v_lshlrev_b64_e32 v[9:10], 3, v[70:71]
	v_mov_b32_e32 v3, 0
	v_cmp_eq_u64_e64 s7, 0, v[66:67]
	v_cmp_ne_u32_e64 s3, 32, v1
	v_cmp_ne_u32_e64 s4, v1, v0
	v_lshrrev_b32_e32 v118, 5, v1
	s_wait_alu 0xfffd
	v_add_co_ci_u32_e64 v133, null, v49, v18, vcc_lo
	v_mov_b32_e32 v135, 0
	s_cmp_gt_i32 s12, 2
	s_mov_b32 s15, 0
	s_cselect_b32 s19, -1, 0
	s_mov_b32 s13, 0
	s_branch .LBB2_40
.LBB2_39:                               ;   in Loop: Header=BB2_40 Depth=1
	s_wait_alu 0xfffe
	s_or_b32 exec_lo, exec_lo, s9
	v_add_co_u32 v82, vcc_lo, v82, v68
	s_wait_alu 0xfffd
	v_add_co_ci_u32_e64 v83, null, 0, v83, vcc_lo
	v_add_co_u32 v38, vcc_lo, v38, 1
	s_wait_alu 0xfffd
	v_add_co_ci_u32_e64 v39, null, 0, v39, vcc_lo
	s_delay_alu instid0(VALU_DEP_3)
	v_cmp_ge_u64_e32 vcc_lo, v[82:83], v[7:8]
	v_add_co_u32 v5, s9, v5, v131
	s_wait_alu 0xf1ff
	v_add_co_ci_u32_e64 v6, null, 0, v6, s9
	s_or_b32 s13, vcc_lo, s13
	s_wait_alu 0xfffe
	s_and_not1_b32 exec_lo, exec_lo, s13
	s_cbranch_execz .LBB2_205
.LBB2_40:                               ; =>This Loop Header: Depth=1
                                        ;     Child Loop BB2_45 Depth 2
                                        ;     Child Loop BB2_64 Depth 2
	;; [unrolled: 1-line block ×5, first 2 shown]
                                        ;       Child Loop BB2_90 Depth 3
                                        ;       Child Loop BB2_109 Depth 3
	;; [unrolled: 1-line block ×3, first 2 shown]
                                        ;         Child Loop BB2_136 Depth 4
                                        ;       Child Loop BB2_151 Depth 3
                                        ;       Child Loop BB2_126 Depth 3
                                        ;     Child Loop BB2_167 Depth 2
                                        ;       Child Loop BB2_172 Depth 3
                                        ;     Child Loop BB2_193 Depth 2
	s_wait_loadcnt_dscnt 0x0
	flat_load_b32 v19, v[80:81] offset:-4
	v_sub_co_u32 v17, vcc_lo, v7, v82
	s_wait_alu 0xfffd
	v_sub_co_ci_u32_e64 v18, null, v8, v83, vcc_lo
	s_delay_alu instid0(VALU_DEP_1)
	v_cmp_lt_u64_e32 vcc_lo, v[68:69], v[17:18]
	s_wait_alu 0xfffd
	v_cndmask_b32_e32 v144, v17, v68, vcc_lo
	s_and_saveexec_b32 s10, s1
	s_cbranch_execz .LBB2_56
; %bb.41:                               ;   in Loop: Header=BB2_40 Depth=1
	v_add_co_u32 v17, vcc_lo, v15, 1
	s_wait_alu 0xfffd
	v_add_co_ci_u32_e64 v18, null, 0, v16, vcc_lo
	v_add_co_u32 v98, vcc_lo, v64, 8
	s_wait_alu 0xfffd
	v_add_co_ci_u32_e64 v99, null, 0, v65, vcc_lo
	s_mov_b32 s11, exec_lo
	v_cmpx_lt_u64_e64 v[98:99], v[17:18]
	s_cbranch_execz .LBB2_53
; %bb.42:                               ;   in Loop: Header=BB2_40 Depth=1
	s_mov_b32 s14, 0
	s_mov_b32 s23, 0
	v_cmp_eq_u32_e32 vcc_lo, 0, v135
                                        ; implicit-def: $sgpr20
                                        ; implicit-def: $sgpr21
                                        ; implicit-def: $sgpr22
	s_branch .LBB2_45
.LBB2_43:                               ;   in Loop: Header=BB2_45 Depth=2
	s_wait_alu 0xfffe
	s_or_b32 exec_lo, exec_lo, s28
	s_delay_alu instid0(SALU_CYCLE_1)
	s_and_not1_b32 s9, s22, exec_lo
	s_and_b32 s22, s26, exec_lo
	s_and_not1_b32 s21, s21, exec_lo
	s_and_b32 s25, s25, exec_lo
	s_wait_alu 0xfffe
	s_or_b32 s22, s9, s22
	s_or_b32 s21, s21, s25
.LBB2_44:                               ;   in Loop: Header=BB2_45 Depth=2
	s_wait_alu 0xfffe
	s_or_b32 exec_lo, exec_lo, s24
	s_delay_alu instid0(SALU_CYCLE_1)
	s_and_b32 s9, exec_lo, s21
	s_wait_alu 0xfffe
	s_or_b32 s14, s9, s14
	s_and_not1_b32 s9, s20, exec_lo
	s_and_b32 s20, s22, exec_lo
	s_wait_alu 0xfffe
	s_or_b32 s20, s9, s20
	s_and_not1_b32 exec_lo, exec_lo, s14
	s_cbranch_execz .LBB2_50
.LBB2_45:                               ;   Parent Loop BB2_40 Depth=1
                                        ; =>  This Inner Loop Header: Depth=2
	s_sleep 1
	s_wait_loadcnt_dscnt 0x0
	flat_load_b64 v[64:65], v[54:55] scope:SCOPE_DEV
	v_mov_b32_e32 v135, 1
	s_or_b32 s22, s22, exec_lo
	s_or_b32 s21, s21, exec_lo
                                        ; implicit-def: $vgpr16
	s_and_saveexec_b32 s24, vcc_lo
	s_cbranch_execz .LBB2_44
; %bb.46:                               ;   in Loop: Header=BB2_45 Depth=2
	s_wait_alu 0xfffe
	s_add_co_i32 s23, s23, 1
	s_mov_b32 s25, -1
	s_wait_alu 0xfffe
	s_cmp_lg_u32 s23, 0x2710
	s_mov_b32 s26, -1
	s_cselect_b32 s27, -1, 0
	s_cmp_eq_u32 s23, 0x2710
                                        ; implicit-def: $vgpr16
	s_cbranch_scc1 .LBB2_48
; %bb.47:                               ;   in Loop: Header=BB2_45 Depth=2
	v_mov_b32_e32 v135, 1
	s_wait_alu 0xfffe
	s_and_saveexec_b32 s28, s27
	s_cbranch_execz .LBB2_43
	s_branch .LBB2_49
.LBB2_48:                               ;   in Loop: Header=BB2_45 Depth=2
	s_trap 2
	ds_load_b64 v[98:99], v0
	s_wait_alu 0xfffe
	s_and_not1_b32 s23, s27, exec_lo
	s_mov_b32 s26, 0
	s_wait_storecnt 0x0
	s_wait_loadcnt_dscnt 0x0
	flat_load_b32 v16, v[98:99] scope:SCOPE_SYS
	s_wait_loadcnt_dscnt 0x0
	global_inv scope:SCOPE_SYS
	v_cmp_eq_u32_e64 s9, 0, v16
	s_and_b32 s9, s9, exec_lo
	s_wait_alu 0xfffe
	s_or_b32 s27, s23, s9
	s_mov_b32 s23, 0
	v_mov_b32_e32 v135, 1
	s_wait_alu 0xfffe
	s_and_saveexec_b32 s28, s27
	s_cbranch_execz .LBB2_43
.LBB2_49:                               ;   in Loop: Header=BB2_45 Depth=2
	s_wait_loadcnt_dscnt 0x0
	v_add_co_u32 v98, s9, v64, 8
	s_wait_alu 0xf1ff
	v_add_co_ci_u32_e64 v99, null, 0, v65, s9
	v_mov_b32_e32 v135, 0
	s_or_b32 s26, s26, exec_lo
	s_delay_alu instid0(VALU_DEP_2)
	v_cmp_ge_u64_e64 s9, v[98:99], v[17:18]
	s_or_not1_b32 s25, s9, exec_lo
	s_branch .LBB2_43
.LBB2_50:                               ;   in Loop: Header=BB2_40 Depth=1
	s_or_b32 exec_lo, exec_lo, s14
	s_wait_alu 0xfffe
	s_xor_b32 s9, s20, -1
	s_wait_alu 0xfffe
	s_and_saveexec_b32 s14, s9
	s_wait_alu 0xfffe
	s_xor_b32 s9, exec_lo, s14
	s_cbranch_execz .LBB2_52
; %bb.51:                               ;   in Loop: Header=BB2_40 Depth=1
	v_mov_b32_e32 v135, 1
	s_wait_storecnt 0x0
	s_wait_loadcnt_dscnt 0x0
	ds_store_b32 v0, v16
	s_trap 2
.LBB2_52:                               ;   in Loop: Header=BB2_40 Depth=1
	s_wait_alu 0xfffe
	s_or_b32 exec_lo, exec_lo, s9
.LBB2_53:                               ;   in Loop: Header=BB2_40 Depth=1
	s_wait_alu 0xfffe
	s_or_b32 exec_lo, exec_lo, s11
	s_and_saveexec_b32 s9, s2
	s_cbranch_execz .LBB2_55
; %bb.54:                               ;   in Loop: Header=BB2_40 Depth=1
	v_and_b32_e32 v66, 0x7ffffff8, v15
	v_and_b32_e32 v20, 7, v15
	s_delay_alu instid0(VALU_DEP_2) | instskip(NEXT) | instid1(VALU_DEP_2)
	v_cmp_eq_u64_e32 vcc_lo, 0x7ffffff8, v[66:67]
	v_mad_co_u64_u32 v[98:99], null, v20, 24, v[13:14]
	s_wait_alu 0xfffd
	v_cndmask_b32_e64 v16, v144, s18, vcc_lo
	s_delay_alu instid0(VALU_DEP_1) | instskip(NEXT) | instid1(VALU_DEP_1)
	v_lshlrev_b32_e32 v15, 4, v16
	v_ashrrev_i32_e32 v16, 31, v15
	s_wait_loadcnt 0x0
	s_wait_storecnt 0x0
	flat_store_b64 v[98:99], v[15:16] offset:8 scope:SCOPE_SYS
	s_wait_storecnt 0x0
.LBB2_55:                               ;   in Loop: Header=BB2_40 Depth=1
	s_wait_alu 0xfffe
	s_or_b32 exec_lo, exec_lo, s9
	v_dual_mov_b32 v15, v17 :: v_dual_mov_b32 v16, v18
.LBB2_56:                               ;   in Loop: Header=BB2_40 Depth=1
	s_wait_alu 0xfffe
	s_or_b32 exec_lo, exec_lo, s10
	s_and_saveexec_b32 s9, s3
	s_cbranch_execz .LBB2_75
; %bb.57:                               ;   in Loop: Header=BB2_40 Depth=1
	s_and_saveexec_b32 s10, s4
	s_wait_alu 0xfffe
	s_xor_b32 s10, exec_lo, s10
	s_cbranch_execz .LBB2_72
; %bb.58:                               ;   in Loop: Header=BB2_40 Depth=1
	s_and_saveexec_b32 s11, s5
	s_cbranch_execz .LBB2_71
; %bb.59:                               ;   in Loop: Header=BB2_40 Depth=1
	s_mov_b32 s20, exec_lo
	s_mov_b32 s14, exec_lo
	s_wait_alu 0xfffe
	v_mbcnt_lo_u32_b32 v17, s20, 0
	s_wait_storecnt 0x0
	s_wait_loadcnt_dscnt 0x0
	global_inv scope:SCOPE_DEV
	v_cmpx_eq_u32_e32 0, v17
	s_cbranch_execz .LBB2_61
; %bb.60:                               ;   in Loop: Header=BB2_40 Depth=1
	s_bcnt1_i32_b32 s20, s20
	s_wait_alu 0xfffe
	v_mov_b32_e32 v66, s20
	s_wait_loadcnt 0x0
	ds_add_u64 v0, v[66:67]
	s_trap 2
.LBB2_61:                               ;   in Loop: Header=BB2_40 Depth=1
	s_or_b32 exec_lo, exec_lo, s14
	s_trap 2
	ds_load_b64 v[17:18], v0
	s_wait_dscnt 0x0
	global_inv scope:SCOPE_SE
	v_add_co_u32 v2, vcc_lo, v2, v118
	s_wait_alu 0xfffd
	v_add_co_ci_u32_e64 v3, null, 0, v3, vcc_lo
	s_mov_b32 s14, exec_lo
	v_cmpx_lt_u64_e64 v[17:18], v[2:3]
	s_cbranch_execz .LBB2_70
; %bb.62:                               ;   in Loop: Header=BB2_40 Depth=1
	s_mov_b32 s20, 0
	s_mov_b32 s23, 0
                                        ; implicit-def: $sgpr21
                                        ; implicit-def: $sgpr22
	s_branch .LBB2_64
.LBB2_63:                               ;   in Loop: Header=BB2_64 Depth=2
	s_wait_alu 0xfffe
	s_or_b32 exec_lo, exec_lo, s25
	s_delay_alu instid0(SALU_CYCLE_1)
	s_and_b32 s24, exec_lo, s26
	s_wait_alu 0xfffe
	s_or_b32 s20, s24, s20
	s_and_not1_b32 s21, s21, exec_lo
	s_and_b32 s24, s22, exec_lo
	s_wait_alu 0xfffe
	s_or_b32 s21, s21, s24
	s_and_not1_b32 exec_lo, exec_lo, s20
	s_cbranch_execz .LBB2_68
.LBB2_64:                               ;   Parent Loop BB2_40 Depth=1
                                        ; =>  This Inner Loop Header: Depth=2
	s_wait_alu 0xfffe
	s_add_co_i32 s23, s23, 1
	s_wait_alu 0xfffe
	s_cmp_lg_u32 s23, 0x2710
	s_cselect_b32 s24, -1, 0
	s_wait_alu 0xfffe
	s_and_b32 vcc_lo, exec_lo, s24
	s_wait_alu 0xfffe
	s_cbranch_vccz .LBB2_66
; %bb.65:                               ;   in Loop: Header=BB2_64 Depth=2
	s_mov_b32 s26, -1
	s_or_b32 s22, s22, exec_lo
	s_and_saveexec_b32 s25, s24
	s_cbranch_execz .LBB2_63
	s_branch .LBB2_67
.LBB2_66:                               ;   in Loop: Header=BB2_64 Depth=2
	s_trap 2
	ds_load_b64 v[17:18], v0
	s_and_not1_b32 s24, s24, exec_lo
	s_mov_b32 s23, 0
	s_wait_loadcnt_dscnt 0x0
	flat_load_b32 v17, v[17:18] scope:SCOPE_SYS
	s_wait_loadcnt_dscnt 0x0
	global_inv scope:SCOPE_SYS
	v_cmp_eq_u32_e32 vcc_lo, 0, v17
	s_and_b32 s25, vcc_lo, exec_lo
	s_wait_alu 0xfffe
	s_or_b32 s24, s24, s25
	s_mov_b32 s26, -1
	s_or_b32 s22, s22, exec_lo
	s_wait_alu 0xfffe
	s_and_saveexec_b32 s25, s24
	s_cbranch_execz .LBB2_63
.LBB2_67:                               ;   in Loop: Header=BB2_64 Depth=2
	s_sleep 1
	s_trap 2
	ds_load_b64 v[17:18], v0
	s_wait_dscnt 0x0
	global_inv scope:SCOPE_SE
	s_wait_alu 0xfffe
	s_and_not1_b32 s22, s22, exec_lo
	v_cmp_ge_u64_e32 vcc_lo, v[17:18], v[2:3]
	s_or_not1_b32 s26, vcc_lo, exec_lo
	s_branch .LBB2_63
.LBB2_68:                               ;   in Loop: Header=BB2_40 Depth=1
	s_or_b32 exec_lo, exec_lo, s20
	s_wait_alu 0xfffe
	s_and_saveexec_b32 s20, s21
	s_wait_alu 0xfffe
	s_xor_b32 s20, exec_lo, s20
	s_cbranch_execz .LBB2_70
; %bb.69:                               ;   in Loop: Header=BB2_40 Depth=1
	ds_store_b32 v0, v134
	s_trap 2
.LBB2_70:                               ;   in Loop: Header=BB2_40 Depth=1
	s_wait_alu 0xfffe
	s_or_b32 exec_lo, exec_lo, s14
	;;#ASMSTART
	s_wakeup
	;;#ASMEND
.LBB2_71:                               ;   in Loop: Header=BB2_40 Depth=1
	s_wait_alu 0xfffe
	s_or_b32 exec_lo, exec_lo, s11
.LBB2_72:                               ;   in Loop: Header=BB2_40 Depth=1
	s_wait_alu 0xfffe
	s_and_not1_saveexec_b32 s10, s10
	s_cbranch_execz .LBB2_74
; %bb.73:                               ;   in Loop: Header=BB2_40 Depth=1
	s_wait_storecnt 0x0
	s_wait_loadcnt_dscnt 0x0
	global_inv scope:SCOPE_DEV
	s_barrier_signal -1
	s_barrier_wait -1
.LBB2_74:                               ;   in Loop: Header=BB2_40 Depth=1
	s_wait_alu 0xfffe
	s_or_b32 exec_lo, exec_lo, s10
.LBB2_75:                               ;   in Loop: Header=BB2_40 Depth=1
	s_wait_alu 0xfffe
	s_or_b32 exec_lo, exec_lo, s9
	v_sub_nc_u32_e32 v145, v144, v4
	v_dual_mov_b32 v98, v4 :: v_dual_and_b32 v103, 7, v21
	v_add_nc_u32_e32 v18, 1, v21
	s_delay_alu instid0(VALU_DEP_3)
	v_cmp_lt_i32_e64 s9, 0, v145
	s_and_saveexec_b32 s11, s9
	s_cbranch_execz .LBB2_79
; %bb.76:                               ;   in Loop: Header=BB2_40 Depth=1
	v_mul_lo_u32 v101, v103, s18
	s_wait_loadcnt_dscnt 0x0
	v_ashrrev_i32_e32 v17, 31, v19
	v_mad_co_u64_u32 v[99:100], null, v9, v19, v[5:6]
	v_mul_lo_u32 v98, v10, v19
	v_mov_b32_e32 v66, v145
	s_delay_alu instid0(VALU_DEP_4) | instskip(SKIP_2) | instid1(VALU_DEP_1)
	v_mul_lo_u32 v17, v9, v17
	s_mov_b32 s14, 0
	v_ashrrev_i32_e32 v102, 31, v101
	v_lshlrev_b64_e32 v[19:20], 4, v[101:102]
	s_delay_alu instid0(VALU_DEP_3) | instskip(SKIP_1) | instid1(VALU_DEP_3)
	v_add3_u32 v100, v98, v100, v17
	v_mov_b32_e32 v98, v4
	v_add_co_u32 v101, vcc_lo, v132, v19
	s_wait_alu 0xfffd
	s_delay_alu instid0(VALU_DEP_4)
	v_add_co_ci_u32_e64 v102, null, v133, v20, vcc_lo
.LBB2_77:                               ;   Parent Loop BB2_40 Depth=1
                                        ; =>  This Inner Loop Header: Depth=2
	global_load_b64 v[112:113], v[99:100], off th:TH_LOAD_NT
	v_mov_b32_e32 v20, v18
	v_sub_nc_u32_e32 v66, v66, v1
	v_add_nc_u32_e32 v98, v98, v1
	v_add_co_u32 v99, vcc_lo, v99, v86
	s_wait_alu 0xfffd
	v_add_co_ci_u32_e64 v100, null, v100, v87, vcc_lo
	v_cmp_gt_i32_e32 vcc_lo, 1, v66
	s_wait_alu 0xfffe
	s_or_b32 s14, vcc_lo, s14
	s_wait_loadcnt 0x0
	v_mov_b32_e32 v17, v112
	v_mov_b32_e32 v19, v113
	global_store_b128 v[101:102], v[17:20], off
	v_add_co_u32 v101, s10, v101, v96
	s_wait_alu 0xf1ff
	v_add_co_ci_u32_e64 v102, null, v102, v97, s10
	s_wait_alu 0xfffe
	s_and_not1_b32 exec_lo, exec_lo, s14
	s_cbranch_execnz .LBB2_77
; %bb.78:                               ;   in Loop: Header=BB2_40 Depth=1
	s_or_b32 exec_lo, exec_lo, s14
.LBB2_79:                               ;   in Loop: Header=BB2_40 Depth=1
	s_wait_alu 0xfffe
	s_or_b32 exec_lo, exec_lo, s11
	v_and_b32_e32 v66, 0x7ffffff8, v21
	v_cmp_gt_i32_e64 s10, s18, v98
	s_delay_alu instid0(VALU_DEP_2)
	v_cmp_eq_u64_e32 vcc_lo, 0x7ffffff8, v[66:67]
	s_and_b32 s10, vcc_lo, s10
	s_wait_alu 0xfffe
	s_and_saveexec_b32 s11, s10
	s_cbranch_execz .LBB2_82
; %bb.80:                               ;   in Loop: Header=BB2_40 Depth=1
	s_wait_loadcnt_dscnt 0x0
	v_mul_lo_u32 v19, v103, s18
	v_ashrrev_i32_e32 v99, 31, v98
	v_mov_b32_e32 v17, v67
	s_mov_b32 s14, 0
	s_delay_alu instid0(VALU_DEP_2) | instskip(NEXT) | instid1(VALU_DEP_4)
	v_lshlrev_b64_e32 v[99:100], 4, v[98:99]
	v_ashrrev_i32_e32 v20, 31, v19
	s_delay_alu instid0(VALU_DEP_1) | instskip(NEXT) | instid1(VALU_DEP_1)
	v_lshlrev_b64_e32 v[19:20], 4, v[19:20]
	v_add_co_u32 v19, vcc_lo, v99, v19
	s_wait_alu 0xfffd
	s_delay_alu instid0(VALU_DEP_2) | instskip(NEXT) | instid1(VALU_DEP_2)
	v_add_co_ci_u32_e64 v20, null, v100, v20, vcc_lo
	v_add_co_u32 v99, vcc_lo, v48, v19
	s_wait_alu 0xfffd
	s_delay_alu instid0(VALU_DEP_2)
	v_add_co_ci_u32_e64 v100, null, v49, v20, vcc_lo
.LBB2_81:                               ;   Parent Loop BB2_40 Depth=1
                                        ; =>  This Inner Loop Header: Depth=2
	v_dual_mov_b32 v19, v17 :: v_dual_add_nc_u32 v98, v98, v1
	v_mov_b32_e32 v20, v18
	s_delay_alu instid0(VALU_DEP_2)
	v_cmp_le_i32_e32 vcc_lo, s18, v98
	global_store_b128 v[99:100], v[17:20], off
	v_add_co_u32 v99, s10, v99, v96
	s_wait_alu 0xf1ff
	v_add_co_ci_u32_e64 v100, null, v100, v97, s10
	s_wait_alu 0xfffe
	s_or_b32 s14, vcc_lo, s14
	s_wait_alu 0xfffe
	s_and_not1_b32 exec_lo, exec_lo, s14
	s_cbranch_execnz .LBB2_81
.LBB2_82:                               ;   in Loop: Header=BB2_40 Depth=1
	s_wait_alu 0xfffe
	s_or_b32 exec_lo, exec_lo, s11
	v_add_co_u32 v17, vcc_lo, v82, v25
	s_wait_alu 0xfffd
	v_add_co_ci_u32_e64 v18, null, v83, v26, vcc_lo
	v_add_co_u32 v100, vcc_lo, v21, 1
	s_wait_alu 0xfffd
	v_add_co_ci_u32_e64 v101, null, 0, v22, vcc_lo
	s_delay_alu instid0(VALU_DEP_3)
	v_lshlrev_b64_e32 v[98:99], 3, v[17:18]
	s_and_not1_b32 vcc_lo, exec_lo, s19
	s_wait_alu 0xfffe
	s_cbranch_vccnz .LBB2_162
; %bb.83:                               ;   in Loop: Header=BB2_40 Depth=1
	s_delay_alu instid0(VALU_DEP_1)
	v_add_co_u32 v146, vcc_lo, v119, v98
	s_wait_alu 0xfffd
	v_add_co_ci_u32_e64 v147, null, v128, v99, vcc_lo
	v_add_nc_u16 v148, v21, 1
	s_mov_b32 s20, 2
	s_branch .LBB2_85
.LBB2_84:                               ;   in Loop: Header=BB2_85 Depth=2
	s_wait_alu 0xfffe
	s_or_b32 exec_lo, exec_lo, s11
	v_add_co_u32 v38, vcc_lo, v38, 1
	s_wait_alu 0xfffd
	v_add_co_ci_u32_e64 v39, null, 0, v39, vcc_lo
	v_add_co_u32 v100, vcc_lo, v100, 1
	s_wait_alu 0xfffd
	v_add_co_ci_u32_e64 v101, null, 0, v101, vcc_lo
	v_add_nc_u16 v148, v148, 1
	s_add_co_i32 s20, s20, 1
	s_wait_alu 0xfffe
	s_cmp_eq_u32 s20, s12
	s_cbranch_scc1 .LBB2_162
.LBB2_85:                               ;   Parent Loop BB2_40 Depth=1
                                        ; =>  This Loop Header: Depth=2
                                        ;       Child Loop BB2_90 Depth 3
                                        ;       Child Loop BB2_109 Depth 3
	;; [unrolled: 1-line block ×3, first 2 shown]
                                        ;         Child Loop BB2_136 Depth 4
                                        ;       Child Loop BB2_151 Depth 3
                                        ;       Child Loop BB2_126 Depth 3
	s_wait_alu 0xfffe
	s_sub_co_i32 s14, s12, s20
	s_wait_alu 0xfffe
	s_lshl_b64 s[10:11], s[14:15], 2
	s_wait_alu 0xfffe
	v_add_co_u32 v17, vcc_lo, v23, s10
	s_wait_alu 0xfffd
	v_add_co_ci_u32_e64 v18, null, s11, v24, vcc_lo
	s_wait_loadcnt_dscnt 0x0
	flat_load_b32 v19, v[17:18]
	s_and_saveexec_b32 s11, s1
	s_cbranch_execz .LBB2_101
; %bb.86:                               ;   in Loop: Header=BB2_85 Depth=2
	v_add_co_u32 v17, vcc_lo, v15, 1
	s_wait_alu 0xfffd
	v_add_co_ci_u32_e64 v18, null, 0, v16, vcc_lo
	v_add_co_u32 v20, vcc_lo, v64, 8
	s_wait_alu 0xfffd
	v_add_co_ci_u32_e64 v21, null, 0, v65, vcc_lo
	s_mov_b32 s14, exec_lo
	v_cmpx_lt_u64_e64 v[20:21], v[17:18]
	s_cbranch_execz .LBB2_98
; %bb.87:                               ;   in Loop: Header=BB2_85 Depth=2
	s_mov_b32 s21, 0
	s_mov_b32 s25, 0
	v_cmp_eq_u32_e32 vcc_lo, 0, v135
                                        ; implicit-def: $sgpr22
                                        ; implicit-def: $sgpr23
                                        ; implicit-def: $sgpr24
	s_branch .LBB2_90
.LBB2_88:                               ;   in Loop: Header=BB2_90 Depth=3
	s_wait_alu 0xfffe
	s_or_b32 exec_lo, exec_lo, s40
	s_delay_alu instid0(SALU_CYCLE_1)
	s_and_not1_b32 s10, s24, exec_lo
	s_and_b32 s24, s28, exec_lo
	s_and_not1_b32 s23, s23, exec_lo
	s_and_b32 s27, s27, exec_lo
	s_wait_alu 0xfffe
	s_or_b32 s24, s10, s24
	s_or_b32 s23, s23, s27
.LBB2_89:                               ;   in Loop: Header=BB2_90 Depth=3
	s_wait_alu 0xfffe
	s_or_b32 exec_lo, exec_lo, s26
	s_delay_alu instid0(SALU_CYCLE_1)
	s_and_b32 s10, exec_lo, s23
	s_wait_alu 0xfffe
	s_or_b32 s21, s10, s21
	s_and_not1_b32 s10, s22, exec_lo
	s_and_b32 s22, s24, exec_lo
	s_wait_alu 0xfffe
	s_or_b32 s22, s10, s22
	s_and_not1_b32 exec_lo, exec_lo, s21
	s_cbranch_execz .LBB2_95
.LBB2_90:                               ;   Parent Loop BB2_40 Depth=1
                                        ;     Parent Loop BB2_85 Depth=2
                                        ; =>    This Inner Loop Header: Depth=3
	s_sleep 1
	s_wait_loadcnt_dscnt 0x0
	flat_load_b64 v[64:65], v[54:55] scope:SCOPE_DEV
	v_mov_b32_e32 v135, 1
	s_or_b32 s24, s24, exec_lo
	s_or_b32 s23, s23, exec_lo
                                        ; implicit-def: $vgpr16
	s_and_saveexec_b32 s26, vcc_lo
	s_cbranch_execz .LBB2_89
; %bb.91:                               ;   in Loop: Header=BB2_90 Depth=3
	s_wait_alu 0xfffe
	s_add_co_i32 s25, s25, 1
	s_mov_b32 s27, -1
	s_wait_alu 0xfffe
	s_cmp_lg_u32 s25, 0x2710
	s_mov_b32 s28, -1
	s_cselect_b32 s29, -1, 0
	s_cmp_eq_u32 s25, 0x2710
                                        ; implicit-def: $vgpr16
	s_cbranch_scc1 .LBB2_93
; %bb.92:                               ;   in Loop: Header=BB2_90 Depth=3
	v_mov_b32_e32 v135, 1
	s_wait_alu 0xfffe
	s_and_saveexec_b32 s40, s29
	s_cbranch_execz .LBB2_88
	s_branch .LBB2_94
.LBB2_93:                               ;   in Loop: Header=BB2_90 Depth=3
	s_trap 2
	ds_load_b64 v[20:21], v0
	s_wait_alu 0xfffe
	s_and_not1_b32 s25, s29, exec_lo
	s_mov_b32 s28, 0
	s_wait_storecnt 0x0
	s_wait_loadcnt_dscnt 0x0
	flat_load_b32 v16, v[20:21] scope:SCOPE_SYS
	s_wait_loadcnt_dscnt 0x0
	global_inv scope:SCOPE_SYS
	v_cmp_eq_u32_e64 s10, 0, v16
	s_and_b32 s10, s10, exec_lo
	s_wait_alu 0xfffe
	s_or_b32 s29, s25, s10
	s_mov_b32 s25, 0
	v_mov_b32_e32 v135, 1
	s_wait_alu 0xfffe
	s_and_saveexec_b32 s40, s29
	s_cbranch_execz .LBB2_88
.LBB2_94:                               ;   in Loop: Header=BB2_90 Depth=3
	s_wait_loadcnt_dscnt 0x0
	v_add_co_u32 v20, s10, v64, 8
	s_wait_alu 0xf1ff
	v_add_co_ci_u32_e64 v21, null, 0, v65, s10
	v_mov_b32_e32 v135, 0
	s_or_b32 s28, s28, exec_lo
	s_delay_alu instid0(VALU_DEP_2)
	v_cmp_ge_u64_e64 s10, v[20:21], v[17:18]
	s_or_not1_b32 s27, s10, exec_lo
	s_branch .LBB2_88
.LBB2_95:                               ;   in Loop: Header=BB2_85 Depth=2
	s_or_b32 exec_lo, exec_lo, s21
	s_wait_alu 0xfffe
	s_xor_b32 s10, s22, -1
	s_wait_alu 0xfffe
	s_and_saveexec_b32 s21, s10
	s_wait_alu 0xfffe
	s_xor_b32 s10, exec_lo, s21
	s_cbranch_execz .LBB2_97
; %bb.96:                               ;   in Loop: Header=BB2_85 Depth=2
	v_mov_b32_e32 v135, 1
	s_wait_storecnt 0x0
	s_wait_loadcnt_dscnt 0x0
	ds_store_b32 v0, v16
	s_trap 2
.LBB2_97:                               ;   in Loop: Header=BB2_85 Depth=2
	s_wait_alu 0xfffe
	s_or_b32 exec_lo, exec_lo, s10
.LBB2_98:                               ;   in Loop: Header=BB2_85 Depth=2
	s_wait_alu 0xfffe
	s_or_b32 exec_lo, exec_lo, s14
	s_and_saveexec_b32 s10, s2
	s_cbranch_execz .LBB2_100
; %bb.99:                               ;   in Loop: Header=BB2_85 Depth=2
	v_and_b32_e32 v66, 0x7ffffff8, v15
	v_and_b32_e32 v20, 7, v15
	s_delay_alu instid0(VALU_DEP_2) | instskip(NEXT) | instid1(VALU_DEP_2)
	v_cmp_eq_u64_e32 vcc_lo, 0x7ffffff8, v[66:67]
	v_mad_co_u64_u32 v[20:21], null, v20, 24, v[13:14]
	s_wait_alu 0xfffd
	v_cndmask_b32_e64 v16, v144, s18, vcc_lo
	s_delay_alu instid0(VALU_DEP_1) | instskip(NEXT) | instid1(VALU_DEP_1)
	v_lshlrev_b32_e32 v15, 4, v16
	v_ashrrev_i32_e32 v16, 31, v15
	s_wait_loadcnt 0x0
	s_wait_storecnt 0x0
	flat_store_b64 v[20:21], v[15:16] offset:8 scope:SCOPE_SYS
	s_wait_storecnt 0x0
.LBB2_100:                              ;   in Loop: Header=BB2_85 Depth=2
	s_wait_alu 0xfffe
	s_or_b32 exec_lo, exec_lo, s10
	v_dual_mov_b32 v15, v17 :: v_dual_mov_b32 v16, v18
.LBB2_101:                              ;   in Loop: Header=BB2_85 Depth=2
	s_wait_alu 0xfffe
	s_or_b32 exec_lo, exec_lo, s11
	s_and_saveexec_b32 s10, s3
	s_cbranch_execz .LBB2_120
; %bb.102:                              ;   in Loop: Header=BB2_85 Depth=2
	s_and_saveexec_b32 s11, s4
	s_wait_alu 0xfffe
	s_xor_b32 s11, exec_lo, s11
	s_cbranch_execz .LBB2_117
; %bb.103:                              ;   in Loop: Header=BB2_85 Depth=2
	s_and_saveexec_b32 s14, s5
	s_cbranch_execz .LBB2_116
; %bb.104:                              ;   in Loop: Header=BB2_85 Depth=2
	s_mov_b32 s22, exec_lo
	s_mov_b32 s21, exec_lo
	s_wait_alu 0xfffe
	v_mbcnt_lo_u32_b32 v17, s22, 0
	s_wait_storecnt 0x0
	s_wait_loadcnt_dscnt 0x0
	global_inv scope:SCOPE_DEV
	v_cmpx_eq_u32_e32 0, v17
	s_cbranch_execz .LBB2_106
; %bb.105:                              ;   in Loop: Header=BB2_85 Depth=2
	s_bcnt1_i32_b32 s22, s22
	s_wait_alu 0xfffe
	v_mov_b32_e32 v66, s22
	s_wait_loadcnt 0x0
	ds_add_u64 v0, v[66:67]
	s_trap 2
.LBB2_106:                              ;   in Loop: Header=BB2_85 Depth=2
	s_or_b32 exec_lo, exec_lo, s21
	s_trap 2
	ds_load_b64 v[17:18], v0
	s_wait_dscnt 0x0
	global_inv scope:SCOPE_SE
	v_add_co_u32 v2, vcc_lo, v2, v118
	s_wait_alu 0xfffd
	v_add_co_ci_u32_e64 v3, null, 0, v3, vcc_lo
	s_mov_b32 s21, exec_lo
	v_cmpx_lt_u64_e64 v[17:18], v[2:3]
	s_cbranch_execz .LBB2_115
; %bb.107:                              ;   in Loop: Header=BB2_85 Depth=2
	s_mov_b32 s22, 0
	s_mov_b32 s25, 0
                                        ; implicit-def: $sgpr23
                                        ; implicit-def: $sgpr24
	s_branch .LBB2_109
.LBB2_108:                              ;   in Loop: Header=BB2_109 Depth=3
	s_wait_alu 0xfffe
	s_or_b32 exec_lo, exec_lo, s27
	s_delay_alu instid0(SALU_CYCLE_1)
	s_and_b32 s26, exec_lo, s28
	s_wait_alu 0xfffe
	s_or_b32 s22, s26, s22
	s_and_not1_b32 s23, s23, exec_lo
	s_and_b32 s26, s24, exec_lo
	s_wait_alu 0xfffe
	s_or_b32 s23, s23, s26
	s_and_not1_b32 exec_lo, exec_lo, s22
	s_cbranch_execz .LBB2_113
.LBB2_109:                              ;   Parent Loop BB2_40 Depth=1
                                        ;     Parent Loop BB2_85 Depth=2
                                        ; =>    This Inner Loop Header: Depth=3
	s_wait_alu 0xfffe
	s_add_co_i32 s25, s25, 1
	s_wait_alu 0xfffe
	s_cmp_lg_u32 s25, 0x2710
	s_cselect_b32 s26, -1, 0
	s_wait_alu 0xfffe
	s_and_b32 vcc_lo, exec_lo, s26
	s_wait_alu 0xfffe
	s_cbranch_vccz .LBB2_111
; %bb.110:                              ;   in Loop: Header=BB2_109 Depth=3
	s_mov_b32 s28, -1
	s_or_b32 s24, s24, exec_lo
	s_and_saveexec_b32 s27, s26
	s_cbranch_execz .LBB2_108
	s_branch .LBB2_112
.LBB2_111:                              ;   in Loop: Header=BB2_109 Depth=3
	s_trap 2
	ds_load_b64 v[17:18], v0
	s_and_not1_b32 s26, s26, exec_lo
	s_mov_b32 s25, 0
	s_wait_loadcnt_dscnt 0x0
	flat_load_b32 v17, v[17:18] scope:SCOPE_SYS
	s_wait_loadcnt_dscnt 0x0
	global_inv scope:SCOPE_SYS
	v_cmp_eq_u32_e32 vcc_lo, 0, v17
	s_and_b32 s27, vcc_lo, exec_lo
	s_wait_alu 0xfffe
	s_or_b32 s26, s26, s27
	s_mov_b32 s28, -1
	s_or_b32 s24, s24, exec_lo
	s_wait_alu 0xfffe
	s_and_saveexec_b32 s27, s26
	s_cbranch_execz .LBB2_108
.LBB2_112:                              ;   in Loop: Header=BB2_109 Depth=3
	s_sleep 1
	s_trap 2
	ds_load_b64 v[17:18], v0
	s_wait_dscnt 0x0
	global_inv scope:SCOPE_SE
	s_wait_alu 0xfffe
	s_and_not1_b32 s24, s24, exec_lo
	v_cmp_ge_u64_e32 vcc_lo, v[17:18], v[2:3]
	s_or_not1_b32 s28, vcc_lo, exec_lo
	s_branch .LBB2_108
.LBB2_113:                              ;   in Loop: Header=BB2_85 Depth=2
	s_or_b32 exec_lo, exec_lo, s22
	s_wait_alu 0xfffe
	s_and_saveexec_b32 s22, s23
	s_wait_alu 0xfffe
	s_xor_b32 s22, exec_lo, s22
	s_cbranch_execz .LBB2_115
; %bb.114:                              ;   in Loop: Header=BB2_85 Depth=2
	ds_store_b32 v0, v134
	s_trap 2
.LBB2_115:                              ;   in Loop: Header=BB2_85 Depth=2
	s_wait_alu 0xfffe
	s_or_b32 exec_lo, exec_lo, s21
	;;#ASMSTART
	s_wakeup
	;;#ASMEND
.LBB2_116:                              ;   in Loop: Header=BB2_85 Depth=2
	s_wait_alu 0xfffe
	s_or_b32 exec_lo, exec_lo, s14
.LBB2_117:                              ;   in Loop: Header=BB2_85 Depth=2
	s_wait_alu 0xfffe
	s_and_not1_saveexec_b32 s11, s11
	s_cbranch_execz .LBB2_119
; %bb.118:                              ;   in Loop: Header=BB2_85 Depth=2
	s_wait_storecnt 0x0
	s_wait_loadcnt_dscnt 0x0
	global_inv scope:SCOPE_DEV
	s_barrier_signal -1
	s_barrier_wait -1
.LBB2_119:                              ;   in Loop: Header=BB2_85 Depth=2
	s_wait_alu 0xfffe
	s_or_b32 exec_lo, exec_lo, s11
.LBB2_120:                              ;   in Loop: Header=BB2_85 Depth=2
	s_wait_alu 0xfffe
	s_or_b32 exec_lo, exec_lo, s10
	v_add_nc_u32_e32 v18, 1, v100
	v_mov_b32_e32 v66, v4
	s_and_saveexec_b32 s14, s9
	s_cbranch_execnz .LBB2_127
; %bb.121:                              ;   in Loop: Header=BB2_85 Depth=2
	s_wait_alu 0xfffe
	s_or_b32 exec_lo, exec_lo, s14
	s_and_saveexec_b32 s10, s3
	s_cbranch_execnz .LBB2_144
.LBB2_122:                              ;   in Loop: Header=BB2_85 Depth=2
	s_wait_alu 0xfffe
	s_or_b32 exec_lo, exec_lo, s10
	s_and_saveexec_b32 s10, s6
	s_cbranch_execz .LBB2_124
.LBB2_123:                              ;   in Loop: Header=BB2_85 Depth=2
	v_add_co_u32 v50, vcc_lo, v50, 1
	s_wait_alu 0xfffd
	v_add_co_ci_u32_e64 v51, null, 0, v51, vcc_lo
	global_wb scope:SCOPE_SYS
	s_wait_storecnt 0x0
	s_wait_loadcnt_dscnt 0x0
	flat_store_b64 v[52:53], v[50:51] scope:SCOPE_SYS
.LBB2_124:                              ;   in Loop: Header=BB2_85 Depth=2
	s_wait_alu 0xfffe
	s_or_b32 exec_lo, exec_lo, s10
	s_wait_loadcnt_dscnt 0x0
	v_dual_mov_b32 v20, v67 :: v_dual_and_b32 v19, 0x7ffffff8, v100
	v_cmp_gt_i32_e64 s10, s18, v66
	s_delay_alu instid0(VALU_DEP_2)
	v_cmp_eq_u64_e32 vcc_lo, 0x7ffffff8, v[19:20]
	s_and_b32 s10, vcc_lo, s10
	s_wait_alu 0xfffe
	s_and_saveexec_b32 s11, s10
	s_cbranch_execz .LBB2_84
; %bb.125:                              ;   in Loop: Header=BB2_85 Depth=2
	v_and_b32_e32 v17, 7, v148
	v_ashrrev_i32_e32 v22, 31, v66
	v_mov_b32_e32 v21, v66
	s_mov_b32 s14, 0
	s_delay_alu instid0(VALU_DEP_3) | instskip(SKIP_1) | instid1(VALU_DEP_3)
	v_mul_lo_u32 v19, s18, v17
	v_mov_b32_e32 v17, v67
	v_lshlrev_b64_e32 v[21:22], 4, v[21:22]
	s_delay_alu instid0(VALU_DEP_3) | instskip(NEXT) | instid1(VALU_DEP_1)
	v_ashrrev_i32_e32 v20, 31, v19
	v_lshlrev_b64_e32 v[19:20], 4, v[19:20]
	s_delay_alu instid0(VALU_DEP_1) | instskip(SKIP_1) | instid1(VALU_DEP_2)
	v_add_co_u32 v19, vcc_lo, v21, v19
	s_wait_alu 0xfffd
	v_add_co_ci_u32_e64 v20, null, v22, v20, vcc_lo
	s_delay_alu instid0(VALU_DEP_2) | instskip(SKIP_1) | instid1(VALU_DEP_2)
	v_add_co_u32 v21, vcc_lo, v48, v19
	s_wait_alu 0xfffd
	v_add_co_ci_u32_e64 v22, null, v49, v20, vcc_lo
.LBB2_126:                              ;   Parent Loop BB2_40 Depth=1
                                        ;     Parent Loop BB2_85 Depth=2
                                        ; =>    This Inner Loop Header: Depth=3
	v_dual_mov_b32 v19, v17 :: v_dual_add_nc_u32 v66, v66, v1
	v_mov_b32_e32 v20, v18
	s_delay_alu instid0(VALU_DEP_2)
	v_cmp_le_i32_e32 vcc_lo, s18, v66
	global_store_b128 v[21:22], v[17:20], off
	v_add_co_u32 v21, s10, v21, v96
	s_wait_alu 0xf1ff
	v_add_co_ci_u32_e64 v22, null, v22, v97, s10
	s_wait_alu 0xfffe
	s_or_b32 s14, vcc_lo, s14
	s_wait_alu 0xfffe
	s_and_not1_b32 exec_lo, exec_lo, s14
	s_cbranch_execnz .LBB2_126
	s_branch .LBB2_84
.LBB2_127:                              ;   in Loop: Header=BB2_85 Depth=2
	s_wait_loadcnt_dscnt 0x0
	v_ashrrev_i32_e32 v17, 31, v19
	v_dual_mov_b32 v162, v145 :: v_dual_and_b32 v21, 7, v38
	v_dual_mov_b32 v163, v135 :: v_dual_and_b32 v66, 7, v100
	v_mul_lo_u32 v22, v71, v19
	v_mad_co_u64_u32 v[19:20], null, v70, v19, 0
	v_mul_lo_u32 v17, v70, v17
	v_mul_lo_u32 v21, v21, s18
	;; [unrolled: 1-line block ×3, first 2 shown]
	v_dual_mov_b32 v66, v4 :: v_dual_add_nc_u32 v149, 1, v38
	s_mov_b32 s21, 0
	s_delay_alu instid0(VALU_DEP_4) | instskip(NEXT) | instid1(VALU_DEP_4)
	v_add3_u32 v20, v20, v17, v22
	v_ashrrev_i32_e32 v22, 31, v21
	s_delay_alu instid0(VALU_DEP_4) | instskip(NEXT) | instid1(VALU_DEP_3)
	v_ashrrev_i32_e32 v103, 31, v102
	v_lshlrev_b64_e32 v[19:20], 3, v[19:20]
	s_delay_alu instid0(VALU_DEP_3) | instskip(NEXT) | instid1(VALU_DEP_3)
	v_lshlrev_b64_e32 v[21:22], 4, v[21:22]
	v_lshlrev_b64_e32 v[112:113], 4, v[102:103]
	s_delay_alu instid0(VALU_DEP_3) | instskip(SKIP_1) | instid1(VALU_DEP_4)
	v_add_co_u32 v102, vcc_lo, v146, v19
	s_wait_alu 0xfffd
	v_add_co_ci_u32_e64 v103, null, v147, v20, vcc_lo
	s_delay_alu instid0(VALU_DEP_4)
	v_add_co_u32 v150, vcc_lo, v36, v21
	s_wait_alu 0xfffd
	v_add_co_ci_u32_e64 v151, null, v37, v22, vcc_lo
	v_add_co_u32 v160, vcc_lo, v48, v112
	s_wait_alu 0xfffd
	v_add_co_ci_u32_e64 v161, null, v49, v113, vcc_lo
	s_branch .LBB2_131
.LBB2_128:                              ;   in Loop: Header=BB2_131 Depth=3
	s_wait_alu 0xfffe
	s_or_b32 exec_lo, exec_lo, s10
.LBB2_129:                              ;   in Loop: Header=BB2_131 Depth=3
	s_wait_alu 0xfffe
	s_or_b32 exec_lo, exec_lo, s23
.LBB2_130:                              ;   in Loop: Header=BB2_131 Depth=3
	s_wait_alu 0xfffe
	s_or_b32 exec_lo, exec_lo, s22
	v_add_co_u32 v102, vcc_lo, v102, v86
	s_wait_alu 0xfffd
	v_add_co_ci_u32_e64 v103, null, v103, v87, vcc_lo
	s_wait_loadcnt 0x0
	v_add_co_u32 v17, vcc_lo, v19, v114
	v_sub_nc_u32_e32 v162, v162, v1
	s_wait_alu 0xfffd
	v_add_co_ci_u32_e64 v19, null, 0, v115, vcc_lo
	v_add_co_u32 v112, vcc_lo, v160, v112
	s_wait_alu 0xfffd
	v_add_co_ci_u32_e64 v113, null, v161, v113, vcc_lo
	v_cmp_gt_i32_e32 vcc_lo, 1, v162
	v_dual_mov_b32 v20, v18 :: v_dual_add_nc_u32 v19, v19, v21
	v_add_nc_u32_e32 v66, v66, v1
	s_or_b32 s21, vcc_lo, s21
	global_store_b128 v[112:113], v[17:20], off
	s_wait_alu 0xfffe
	s_and_not1_b32 exec_lo, exec_lo, s21
	s_cbranch_execz .LBB2_143
.LBB2_131:                              ;   Parent Loop BB2_40 Depth=1
                                        ;     Parent Loop BB2_85 Depth=2
                                        ; =>    This Loop Header: Depth=3
                                        ;         Child Loop BB2_136 Depth 4
	v_lshlrev_b64_e32 v[112:113], 4, v[66:67]
	s_delay_alu instid0(VALU_DEP_1) | instskip(SKIP_1) | instid1(VALU_DEP_2)
	v_add_co_u32 v116, vcc_lo, v150, v112
	s_wait_alu 0xfffd
	v_add_co_ci_u32_e64 v117, null, v151, v113, vcc_lo
	v_cmp_eq_u32_e32 vcc_lo, 0, v163
	v_mov_b32_e32 v163, 1
	global_load_b64 v[114:115], v[102:103], off th:TH_LOAD_NT
	global_load_b128 v[19:22], v[116:117], off th:TH_LOAD_NT
	s_and_saveexec_b32 s22, vcc_lo
	s_cbranch_execz .LBB2_130
; %bb.132:                              ;   in Loop: Header=BB2_131 Depth=3
	s_wait_loadcnt 0x0
	v_cmp_ne_u32_e32 vcc_lo, v149, v20
	v_cmp_ne_u32_e64 s10, v149, v22
	v_mov_b32_e32 v163, 0
	s_or_b32 s10, vcc_lo, s10
	s_wait_alu 0xfffe
	s_and_saveexec_b32 s23, s10
	s_cbranch_execz .LBB2_129
; %bb.133:                              ;   in Loop: Header=BB2_131 Depth=3
	v_cmp_eq_u32_e64 s10, 0, v135
	v_mov_b32_e32 v163, 0
	s_mov_b32 s24, 0
	s_mov_b32 s27, 1
                                        ; implicit-def: $sgpr25
                                        ; implicit-def: $sgpr26
	s_branch .LBB2_136
.LBB2_134:                              ;   in Loop: Header=BB2_136 Depth=4
	s_wait_alu 0xfffe
	s_or_b32 exec_lo, exec_lo, s28
	s_delay_alu instid0(SALU_CYCLE_1)
	s_and_not1_b32 s26, s26, exec_lo
	s_or_not1_b32 s11, s11, exec_lo
.LBB2_135:                              ;   in Loop: Header=BB2_136 Depth=4
	s_wait_alu 0xfffe
	s_or_b32 exec_lo, exec_lo, s40
	s_delay_alu instid0(SALU_CYCLE_1)
	s_and_b32 s11, exec_lo, s11
	s_wait_alu 0xfffe
	s_or_b32 s24, s11, s24
	s_and_not1_b32 s11, s25, exec_lo
	s_and_b32 s25, s26, exec_lo
	s_wait_alu 0xfffe
	s_or_b32 s25, s11, s25
	s_and_not1_b32 exec_lo, exec_lo, s24
	s_cbranch_execz .LBB2_141
.LBB2_136:                              ;   Parent Loop BB2_40 Depth=1
                                        ;     Parent Loop BB2_85 Depth=2
                                        ;       Parent Loop BB2_131 Depth=3
                                        ; =>      This Inner Loop Header: Depth=4
	s_wait_loadcnt 0x0
	global_load_b128 v[19:22], v[116:117], off th:TH_LOAD_NT
	s_wait_alu 0xfffe
	s_add_co_i32 s27, s27, 1
	s_mov_b32 s11, -1
	s_wait_alu 0xfffe
	s_cmp_lg_u32 s27, 0x2710
	s_mov_b32 s29, -1
	s_cselect_b32 s28, -1, 0
                                        ; implicit-def: $vgpr17
	s_wait_alu 0xfffe
	s_and_b32 vcc_lo, exec_lo, s28
	s_wait_alu 0xfffe
	s_cbranch_vccz .LBB2_138
; %bb.137:                              ;   in Loop: Header=BB2_136 Depth=4
	s_or_b32 s26, s26, exec_lo
	s_and_saveexec_b32 s40, s28
	s_cbranch_execz .LBB2_135
	s_branch .LBB2_139
.LBB2_138:                              ;   in Loop: Header=BB2_136 Depth=4
	s_trap 2
	ds_load_b64 v[163:164], v0
	s_and_not1_b32 s28, s28, exec_lo
	s_mov_b32 s27, 0
	s_or_not1_b32 s29, s10, exec_lo
	s_wait_storecnt 0x0
	s_wait_loadcnt_dscnt 0x0
	flat_load_b32 v17, v[163:164] scope:SCOPE_SYS
	s_wait_loadcnt_dscnt 0x0
	global_inv scope:SCOPE_SYS
	v_mov_b32_e32 v163, v135
	v_cmp_eq_u32_e32 vcc_lo, 0, v17
	s_and_b32 s40, vcc_lo, exec_lo
	s_wait_alu 0xfffe
	s_or_b32 s28, s28, s40
	s_or_b32 s26, s26, exec_lo
	s_wait_alu 0xfffe
	s_and_saveexec_b32 s40, s28
	s_cbranch_execz .LBB2_135
.LBB2_139:                              ;   in Loop: Header=BB2_136 Depth=4
	s_and_saveexec_b32 s28, s29
	s_cbranch_execz .LBB2_134
; %bb.140:                              ;   in Loop: Header=BB2_136 Depth=4
	s_wait_loadcnt 0x0
	v_cmp_eq_u32_e32 vcc_lo, v149, v20
	v_cmp_eq_u32_e64 s11, v149, v22
	s_and_b32 s11, vcc_lo, s11
	s_wait_alu 0xfffe
	s_or_not1_b32 s11, s11, exec_lo
	s_branch .LBB2_134
.LBB2_141:                              ;   in Loop: Header=BB2_131 Depth=3
	s_or_b32 exec_lo, exec_lo, s24
	s_wait_alu 0xfffe
	s_and_saveexec_b32 s10, s25
	s_wait_alu 0xfffe
	s_xor_b32 s10, exec_lo, s10
	s_cbranch_execz .LBB2_128
; %bb.142:                              ;   in Loop: Header=BB2_131 Depth=3
	v_mov_b32_e32 v163, 1
	v_mov_b32_e32 v135, 1
	s_wait_loadcnt 0x0
	s_wait_storecnt 0x0
	ds_store_b32 v0, v17
	s_trap 2
	s_branch .LBB2_128
.LBB2_143:                              ;   in Loop: Header=BB2_85 Depth=2
	s_or_b32 exec_lo, exec_lo, s21
	s_delay_alu instid0(SALU_CYCLE_1)
	s_or_b32 exec_lo, exec_lo, s14
	s_and_saveexec_b32 s10, s3
	s_cbranch_execz .LBB2_122
.LBB2_144:                              ;   in Loop: Header=BB2_85 Depth=2
	s_and_saveexec_b32 s11, s4
	s_wait_alu 0xfffe
	s_xor_b32 s11, exec_lo, s11
	s_cbranch_execz .LBB2_159
; %bb.145:                              ;   in Loop: Header=BB2_85 Depth=2
	s_and_saveexec_b32 s14, s5
	s_cbranch_execz .LBB2_158
; %bb.146:                              ;   in Loop: Header=BB2_85 Depth=2
	s_mov_b32 s22, exec_lo
	s_mov_b32 s21, exec_lo
	s_wait_alu 0xfffe
	v_mbcnt_lo_u32_b32 v17, s22, 0
	s_wait_storecnt 0x0
	s_wait_loadcnt_dscnt 0x0
	global_inv scope:SCOPE_DEV
	v_cmpx_eq_u32_e32 0, v17
	s_cbranch_execz .LBB2_148
; %bb.147:                              ;   in Loop: Header=BB2_85 Depth=2
	s_bcnt1_i32_b32 s22, s22
	s_wait_alu 0xfffe
	v_dual_mov_b32 v20, v67 :: v_dual_mov_b32 v19, s22
	s_wait_loadcnt 0x0
	ds_add_u64 v0, v[19:20]
	s_trap 2
.LBB2_148:                              ;   in Loop: Header=BB2_85 Depth=2
	s_or_b32 exec_lo, exec_lo, s21
	s_trap 2
	ds_load_b64 v[19:20], v0
	s_wait_dscnt 0x0
	global_inv scope:SCOPE_SE
	v_add_co_u32 v2, vcc_lo, v2, v118
	s_wait_alu 0xfffd
	v_add_co_ci_u32_e64 v3, null, 0, v3, vcc_lo
	s_mov_b32 s21, exec_lo
	v_cmpx_lt_u64_e64 v[19:20], v[2:3]
	s_cbranch_execz .LBB2_157
; %bb.149:                              ;   in Loop: Header=BB2_85 Depth=2
	s_mov_b32 s22, 0
	s_mov_b32 s25, 0
                                        ; implicit-def: $sgpr23
                                        ; implicit-def: $sgpr24
	s_branch .LBB2_151
.LBB2_150:                              ;   in Loop: Header=BB2_151 Depth=3
	s_wait_alu 0xfffe
	s_or_b32 exec_lo, exec_lo, s27
	s_delay_alu instid0(SALU_CYCLE_1)
	s_and_b32 s26, exec_lo, s28
	s_wait_alu 0xfffe
	s_or_b32 s22, s26, s22
	s_and_not1_b32 s23, s23, exec_lo
	s_and_b32 s26, s24, exec_lo
	s_wait_alu 0xfffe
	s_or_b32 s23, s23, s26
	s_and_not1_b32 exec_lo, exec_lo, s22
	s_cbranch_execz .LBB2_155
.LBB2_151:                              ;   Parent Loop BB2_40 Depth=1
                                        ;     Parent Loop BB2_85 Depth=2
                                        ; =>    This Inner Loop Header: Depth=3
	s_wait_alu 0xfffe
	s_add_co_i32 s25, s25, 1
	s_wait_alu 0xfffe
	s_cmp_lg_u32 s25, 0x2710
	s_cselect_b32 s26, -1, 0
	s_wait_alu 0xfffe
	s_and_b32 vcc_lo, exec_lo, s26
	s_wait_alu 0xfffe
	s_cbranch_vccz .LBB2_153
; %bb.152:                              ;   in Loop: Header=BB2_151 Depth=3
	s_mov_b32 s28, -1
	s_or_b32 s24, s24, exec_lo
	s_and_saveexec_b32 s27, s26
	s_cbranch_execz .LBB2_150
	s_branch .LBB2_154
.LBB2_153:                              ;   in Loop: Header=BB2_151 Depth=3
	s_trap 2
	ds_load_b64 v[19:20], v0
	s_and_not1_b32 s26, s26, exec_lo
	s_mov_b32 s25, 0
	s_wait_loadcnt_dscnt 0x0
	flat_load_b32 v17, v[19:20] scope:SCOPE_SYS
	s_wait_loadcnt_dscnt 0x0
	global_inv scope:SCOPE_SYS
	v_cmp_eq_u32_e32 vcc_lo, 0, v17
	s_and_b32 s27, vcc_lo, exec_lo
	s_wait_alu 0xfffe
	s_or_b32 s26, s26, s27
	s_mov_b32 s28, -1
	s_or_b32 s24, s24, exec_lo
	s_wait_alu 0xfffe
	s_and_saveexec_b32 s27, s26
	s_cbranch_execz .LBB2_150
.LBB2_154:                              ;   in Loop: Header=BB2_151 Depth=3
	s_sleep 1
	s_trap 2
	ds_load_b64 v[19:20], v0
	s_wait_dscnt 0x0
	global_inv scope:SCOPE_SE
	s_wait_alu 0xfffe
	s_and_not1_b32 s24, s24, exec_lo
	v_cmp_ge_u64_e32 vcc_lo, v[19:20], v[2:3]
	s_or_not1_b32 s28, vcc_lo, exec_lo
	s_branch .LBB2_150
.LBB2_155:                              ;   in Loop: Header=BB2_85 Depth=2
	s_or_b32 exec_lo, exec_lo, s22
	s_wait_alu 0xfffe
	s_and_saveexec_b32 s22, s23
	s_wait_alu 0xfffe
	s_xor_b32 s22, exec_lo, s22
	s_cbranch_execz .LBB2_157
; %bb.156:                              ;   in Loop: Header=BB2_85 Depth=2
	ds_store_b32 v0, v134
	s_trap 2
.LBB2_157:                              ;   in Loop: Header=BB2_85 Depth=2
	s_wait_alu 0xfffe
	s_or_b32 exec_lo, exec_lo, s21
	;;#ASMSTART
	s_wakeup
	;;#ASMEND
.LBB2_158:                              ;   in Loop: Header=BB2_85 Depth=2
	s_wait_alu 0xfffe
	s_or_b32 exec_lo, exec_lo, s14
.LBB2_159:                              ;   in Loop: Header=BB2_85 Depth=2
	s_wait_alu 0xfffe
	s_and_not1_saveexec_b32 s11, s11
	s_cbranch_execz .LBB2_161
; %bb.160:                              ;   in Loop: Header=BB2_85 Depth=2
	s_wait_storecnt 0x0
	s_wait_loadcnt_dscnt 0x0
	global_inv scope:SCOPE_DEV
	s_barrier_signal -1
	s_barrier_wait -1
.LBB2_161:                              ;   in Loop: Header=BB2_85 Depth=2
	s_wait_alu 0xfffe
	s_or_b32 exec_lo, exec_lo, s11
	s_delay_alu instid0(SALU_CYCLE_1)
	s_or_b32 exec_lo, exec_lo, s10
	s_and_saveexec_b32 s10, s6
	s_cbranch_execnz .LBB2_123
	s_branch .LBB2_124
.LBB2_162:                              ;   in Loop: Header=BB2_40 Depth=1
	v_dual_mov_b32 v21, v100 :: v_dual_mov_b32 v22, v101
	s_and_saveexec_b32 s11, s9
	s_cbranch_execnz .LBB2_165
; %bb.163:                              ;   in Loop: Header=BB2_40 Depth=1
	s_wait_alu 0xfffe
	s_or_b32 exec_lo, exec_lo, s11
	s_and_saveexec_b32 s9, s3
	s_cbranch_execnz .LBB2_186
.LBB2_164:                              ;   in Loop: Header=BB2_40 Depth=1
	s_wait_alu 0xfffe
	s_or_b32 exec_lo, exec_lo, s9
	s_and_saveexec_b32 s9, s6
	s_cbranch_execz .LBB2_39
	s_branch .LBB2_204
.LBB2_165:                              ;   in Loop: Header=BB2_40 Depth=1
	flat_load_b32 v17, v[23:24]
	v_dual_mov_b32 v117, v135 :: v_dual_and_b32 v20, 7, v38
	v_add_nc_u32_e32 v114, 1, v38
	s_mov_b32 s14, 0
	s_wait_loadcnt_dscnt 0x0
	v_ashrrev_i32_e32 v19, 31, v17
	v_mul_lo_u32 v66, v71, v17
	v_mad_co_u64_u32 v[17:18], null, v70, v17, 0
	s_delay_alu instid0(VALU_DEP_3) | instskip(SKIP_1) | instid1(VALU_DEP_2)
	v_mul_lo_u32 v100, v70, v19
	v_mul_lo_u32 v19, v20, s18
	v_add3_u32 v18, v18, v100, v66
	s_delay_alu instid0(VALU_DEP_2)
	v_ashrrev_i32_e32 v20, 31, v19
	v_add_co_u32 v66, vcc_lo, v11, v98
	s_wait_alu 0xfffd
	v_add_co_ci_u32_e64 v100, null, v12, v99, vcc_lo
	v_lshlrev_b64_e32 v[17:18], 3, v[17:18]
	v_lshlrev_b64_e32 v[19:20], 4, v[19:20]
	v_add_co_u32 v98, vcc_lo, v129, v98
	s_wait_alu 0xfffd
	v_add_co_ci_u32_e64 v99, null, v130, v99, vcc_lo
	s_delay_alu instid0(VALU_DEP_4)
	v_add_co_u32 v17, vcc_lo, v66, v17
	s_wait_alu 0xfffd
	v_add_co_ci_u32_e64 v18, null, v100, v18, vcc_lo
	v_add_co_u32 v115, vcc_lo, v36, v19
	s_wait_alu 0xfffd
	v_add_co_ci_u32_e64 v116, null, v37, v20, vcc_lo
	;; [unrolled: 3-line block ×3, first 2 shown]
	v_mov_b32_e32 v66, v4
	s_branch .LBB2_167
.LBB2_166:                              ;   in Loop: Header=BB2_167 Depth=2
	v_sub_nc_u32_e32 v145, v145, v1
	v_add_co_u32 v100, vcc_lo, v100, v86
	s_wait_alu 0xfffd
	v_add_co_ci_u32_e64 v101, null, v101, v87, vcc_lo
	s_delay_alu instid0(VALU_DEP_3)
	v_cmp_gt_i32_e32 vcc_lo, 1, v145
	v_add_co_u32 v98, s9, v98, v86
	s_wait_alu 0xf1ff
	v_add_co_ci_u32_e64 v99, null, v99, v87, s9
	v_add_nc_u32_e32 v66, v66, v1
	s_or_b32 s14, vcc_lo, s14
	s_wait_alu 0xfffe
	s_and_not1_b32 exec_lo, exec_lo, s14
	s_cbranch_execz .LBB2_185
.LBB2_167:                              ;   Parent Loop BB2_40 Depth=1
                                        ; =>  This Loop Header: Depth=2
                                        ;       Child Loop BB2_172 Depth 3
	s_delay_alu instid0(VALU_DEP_1) | instskip(NEXT) | instid1(VALU_DEP_1)
	v_lshlrev_b64_e32 v[17:18], 4, v[66:67]
	v_add_co_u32 v112, vcc_lo, v115, v17
	s_wait_alu 0xfffd
	s_delay_alu instid0(VALU_DEP_2)
	v_add_co_ci_u32_e64 v113, null, v116, v18, vcc_lo
	v_cmp_eq_u32_e32 vcc_lo, 0, v117
	v_mov_b32_e32 v117, 1
	global_load_b64 v[102:103], v[100:101], off th:TH_LOAD_NT
	global_load_b128 v[17:20], v[112:113], off th:TH_LOAD_NT
	s_and_saveexec_b32 s20, vcc_lo
	s_cbranch_execz .LBB2_181
; %bb.168:                              ;   in Loop: Header=BB2_167 Depth=2
	s_wait_loadcnt 0x0
	v_cmp_ne_u32_e32 vcc_lo, v114, v18
	v_cmp_ne_u32_e64 s9, v114, v20
	v_mov_b32_e32 v117, 0
	s_or_b32 s9, vcc_lo, s9
	s_wait_alu 0xfffe
	s_and_saveexec_b32 s21, s9
	s_cbranch_execz .LBB2_180
; %bb.169:                              ;   in Loop: Header=BB2_167 Depth=2
	v_cmp_eq_u32_e64 s9, 0, v135
	v_mov_b32_e32 v117, 0
	s_mov_b32 s22, 0
	s_mov_b32 s25, 1
                                        ; implicit-def: $sgpr23
                                        ; implicit-def: $sgpr24
	s_branch .LBB2_172
.LBB2_170:                              ;   in Loop: Header=BB2_172 Depth=3
	s_wait_alu 0xfffe
	s_or_b32 exec_lo, exec_lo, s26
	s_delay_alu instid0(SALU_CYCLE_1)
	s_and_not1_b32 s24, s24, exec_lo
	s_or_not1_b32 s10, s10, exec_lo
.LBB2_171:                              ;   in Loop: Header=BB2_172 Depth=3
	s_wait_alu 0xfffe
	s_or_b32 exec_lo, exec_lo, s28
	s_delay_alu instid0(SALU_CYCLE_1)
	s_and_b32 s10, exec_lo, s10
	s_wait_alu 0xfffe
	s_or_b32 s22, s10, s22
	s_and_not1_b32 s10, s23, exec_lo
	s_and_b32 s23, s24, exec_lo
	s_wait_alu 0xfffe
	s_or_b32 s23, s10, s23
	s_and_not1_b32 exec_lo, exec_lo, s22
	s_cbranch_execz .LBB2_177
.LBB2_172:                              ;   Parent Loop BB2_40 Depth=1
                                        ;     Parent Loop BB2_167 Depth=2
                                        ; =>    This Inner Loop Header: Depth=3
	s_wait_loadcnt 0x0
	global_load_b128 v[17:20], v[112:113], off th:TH_LOAD_NT
	s_wait_alu 0xfffe
	s_add_co_i32 s25, s25, 1
	s_mov_b32 s10, -1
	s_wait_alu 0xfffe
	s_cmp_lg_u32 s25, 0x2710
	s_mov_b32 s27, -1
	s_cselect_b32 s26, -1, 0
                                        ; implicit-def: $vgpr144
	s_wait_alu 0xfffe
	s_and_b32 vcc_lo, exec_lo, s26
	s_wait_alu 0xfffe
	s_cbranch_vccz .LBB2_174
; %bb.173:                              ;   in Loop: Header=BB2_172 Depth=3
	s_or_b32 s24, s24, exec_lo
	s_and_saveexec_b32 s28, s26
	s_cbranch_execz .LBB2_171
	s_branch .LBB2_175
.LBB2_174:                              ;   in Loop: Header=BB2_172 Depth=3
	s_trap 2
	ds_load_b64 v[146:147], v0
	v_mov_b32_e32 v117, v135
	s_and_not1_b32 s26, s26, exec_lo
	s_mov_b32 s25, 0
	s_or_not1_b32 s27, s9, exec_lo
	s_wait_storecnt 0x0
	s_wait_loadcnt_dscnt 0x0
	flat_load_b32 v144, v[146:147] scope:SCOPE_SYS
	s_wait_loadcnt_dscnt 0x0
	global_inv scope:SCOPE_SYS
	v_cmp_eq_u32_e32 vcc_lo, 0, v144
	s_and_b32 s28, vcc_lo, exec_lo
	s_wait_alu 0xfffe
	s_or_b32 s26, s26, s28
	s_or_b32 s24, s24, exec_lo
	s_wait_alu 0xfffe
	s_and_saveexec_b32 s28, s26
	s_cbranch_execz .LBB2_171
.LBB2_175:                              ;   in Loop: Header=BB2_172 Depth=3
	s_and_saveexec_b32 s26, s27
	s_cbranch_execz .LBB2_170
; %bb.176:                              ;   in Loop: Header=BB2_172 Depth=3
	s_wait_loadcnt 0x0
	v_cmp_eq_u32_e32 vcc_lo, v114, v18
	v_cmp_eq_u32_e64 s10, v114, v20
	s_and_b32 s10, vcc_lo, s10
	s_wait_alu 0xfffe
	s_or_not1_b32 s10, s10, exec_lo
	s_branch .LBB2_170
.LBB2_177:                              ;   in Loop: Header=BB2_167 Depth=2
	s_or_b32 exec_lo, exec_lo, s22
	s_wait_alu 0xfffe
	s_and_saveexec_b32 s9, s23
	s_wait_alu 0xfffe
	s_xor_b32 s9, exec_lo, s9
	s_cbranch_execz .LBB2_179
; %bb.178:                              ;   in Loop: Header=BB2_167 Depth=2
	v_mov_b32_e32 v117, 1
	v_mov_b32_e32 v135, 1
	s_wait_loadcnt 0x0
	s_wait_storecnt 0x0
	ds_store_b32 v0, v144
	s_trap 2
.LBB2_179:                              ;   in Loop: Header=BB2_167 Depth=2
	s_wait_alu 0xfffe
	s_or_b32 exec_lo, exec_lo, s9
.LBB2_180:                              ;   in Loop: Header=BB2_167 Depth=2
	s_wait_alu 0xfffe
	s_or_b32 exec_lo, exec_lo, s21
.LBB2_181:                              ;   in Loop: Header=BB2_167 Depth=2
	s_wait_alu 0xfffe
	s_or_b32 exec_lo, exec_lo, s20
	s_wait_loadcnt 0x0
	v_add_co_u32 v17, vcc_lo, v17, v102
	s_wait_alu 0xfffd
	v_add_co_ci_u32_e64 v18, null, 0, v103, vcc_lo
	v_mov_b32_e32 v103, v67
	s_delay_alu instid0(VALU_DEP_3) | instskip(SKIP_1) | instid1(VALU_DEP_3)
	v_add_co_u32 v17, vcc_lo, v17, 0
	s_wait_alu 0xfffd
	v_add_co_ci_u32_e64 v18, null, v18, v19, vcc_lo
	s_delay_alu instid0(VALU_DEP_2) | instskip(NEXT) | instid1(VALU_DEP_2)
	v_sub_co_u32 v19, s9, 0, v17
	v_cmp_gt_i64_e32 vcc_lo, 0, v[17:18]
	s_wait_alu 0xf1ff
	v_sub_co_ci_u32_e64 v20, null, 0, v18, s9
	s_and_b32 vcc_lo, s8, vcc_lo
	s_wait_alu 0xfffe
	v_dual_cndmask_b32 v112, v18, v20 :: v_dual_cndmask_b32 v113, v17, v19
	v_mov_b32_e32 v18, v67
	v_mov_b32_e32 v20, v67
	s_delay_alu instid0(VALU_DEP_3) | instskip(NEXT) | instid1(VALU_DEP_1)
	v_mul_hi_u32 v17, v113, v29
	v_mad_co_u64_u32 v[17:18], null, v112, v29, v[17:18]
	s_delay_alu instid0(VALU_DEP_1) | instskip(NEXT) | instid1(VALU_DEP_1)
	v_dual_mov_b32 v19, v17 :: v_dual_mov_b32 v102, v18
	v_mad_co_u64_u32 v[17:18], null, v113, v30, v[19:20]
	s_delay_alu instid0(VALU_DEP_2) | instskip(NEXT) | instid1(VALU_DEP_1)
	v_mad_co_u64_u32 v[19:20], null, v112, v30, v[102:103]
	v_add_co_u32 v102, s9, v19, v18
	s_wait_alu 0xf1ff
	s_delay_alu instid0(VALU_DEP_2) | instskip(NEXT) | instid1(VALU_DEP_2)
	v_add_co_ci_u32_e64 v20, null, 0, v20, s9
	v_mad_co_u64_u32 v[17:18], null, v102, v27, 0
	s_delay_alu instid0(VALU_DEP_1) | instskip(NEXT) | instid1(VALU_DEP_2)
	v_mad_co_u64_u32 v[18:19], null, v20, v27, v[18:19]
	v_sub_co_u32 v17, s9, v113, v17
	v_cndmask_b32_e64 v19, 0, 1, s7
	s_wait_alu 0xf1ff
	s_delay_alu instid0(VALU_DEP_3) | instskip(NEXT) | instid1(VALU_DEP_1)
	v_sub_co_ci_u32_e64 v18, null, v112, v18, s9
	v_cmp_ge_u64_e64 s9, v[17:18], v[27:28]
	s_wait_alu 0xf1ff
	s_delay_alu instid0(VALU_DEP_1) | instskip(NEXT) | instid1(VALU_DEP_1)
	v_cndmask_b32_e64 v17, 0, 1, s9
	v_add_co_u32 v17, s9, v102, v17
	s_wait_alu 0xf1ff
	v_add_co_ci_u32_e64 v18, null, 0, v20, s9
	s_delay_alu instid0(VALU_DEP_2) | instskip(SKIP_1) | instid1(VALU_DEP_2)
	v_sub_co_u32 v20, s9, 0, v17
	s_wait_alu 0xf1ff
	v_sub_co_ci_u32_e64 v102, null, 0, v18, s9
	v_cmp_ne_u32_e64 s9, 0, v19
	s_delay_alu instid0(VALU_DEP_2)
	v_dual_cndmask_b32 v17, v17, v20 :: v_dual_cndmask_b32 v18, v18, v102
	s_cmp_eq_u32 s9, exec_lo
	s_mov_b32 s9, -1
	s_cbranch_scc1 .LBB2_183
; %bb.182:                              ;   in Loop: Header=BB2_167 Depth=2
	s_mov_b32 s9, 0
	flat_store_b64 v[98:99], v[17:18]
.LBB2_183:                              ;   in Loop: Header=BB2_167 Depth=2
	s_wait_alu 0xfffe
	s_and_not1_b32 vcc_lo, exec_lo, s9
	s_wait_alu 0xfffe
	s_cbranch_vccnz .LBB2_166
; %bb.184:                              ;   in Loop: Header=BB2_167 Depth=2
	global_store_b64 v[98:99], v[17:18], off
	s_branch .LBB2_166
.LBB2_185:                              ;   in Loop: Header=BB2_40 Depth=1
	s_or_b32 exec_lo, exec_lo, s14
	s_delay_alu instid0(SALU_CYCLE_1)
	s_or_b32 exec_lo, exec_lo, s11
	s_and_saveexec_b32 s9, s3
	s_cbranch_execz .LBB2_164
.LBB2_186:                              ;   in Loop: Header=BB2_40 Depth=1
	s_and_saveexec_b32 s10, s4
	s_wait_alu 0xfffe
	s_xor_b32 s10, exec_lo, s10
	s_cbranch_execz .LBB2_201
; %bb.187:                              ;   in Loop: Header=BB2_40 Depth=1
	s_and_saveexec_b32 s11, s5
	s_cbranch_execz .LBB2_200
; %bb.188:                              ;   in Loop: Header=BB2_40 Depth=1
	s_mov_b32 s20, exec_lo
	s_mov_b32 s14, exec_lo
	s_wait_alu 0xfffe
	v_mbcnt_lo_u32_b32 v17, s20, 0
	s_wait_storecnt 0x0
	s_wait_loadcnt_dscnt 0x0
	global_inv scope:SCOPE_DEV
	v_cmpx_eq_u32_e32 0, v17
	s_cbranch_execz .LBB2_190
; %bb.189:                              ;   in Loop: Header=BB2_40 Depth=1
	s_bcnt1_i32_b32 s20, s20
	s_wait_alu 0xfffe
	v_mov_b32_e32 v66, s20
	s_wait_loadcnt 0x0
	ds_add_u64 v0, v[66:67]
	s_trap 2
.LBB2_190:                              ;   in Loop: Header=BB2_40 Depth=1
	s_or_b32 exec_lo, exec_lo, s14
	s_trap 2
	ds_load_b64 v[17:18], v0
	s_wait_dscnt 0x0
	global_inv scope:SCOPE_SE
	v_add_co_u32 v2, vcc_lo, v2, v118
	s_wait_alu 0xfffd
	v_add_co_ci_u32_e64 v3, null, 0, v3, vcc_lo
	s_mov_b32 s14, exec_lo
	v_cmpx_lt_u64_e64 v[17:18], v[2:3]
	s_cbranch_execz .LBB2_199
; %bb.191:                              ;   in Loop: Header=BB2_40 Depth=1
	s_mov_b32 s20, 0
	s_mov_b32 s23, 0
                                        ; implicit-def: $sgpr21
                                        ; implicit-def: $sgpr22
	s_branch .LBB2_193
.LBB2_192:                              ;   in Loop: Header=BB2_193 Depth=2
	s_wait_alu 0xfffe
	s_or_b32 exec_lo, exec_lo, s25
	s_delay_alu instid0(SALU_CYCLE_1)
	s_and_b32 s24, exec_lo, s26
	s_wait_alu 0xfffe
	s_or_b32 s20, s24, s20
	s_and_not1_b32 s21, s21, exec_lo
	s_and_b32 s24, s22, exec_lo
	s_wait_alu 0xfffe
	s_or_b32 s21, s21, s24
	s_and_not1_b32 exec_lo, exec_lo, s20
	s_cbranch_execz .LBB2_197
.LBB2_193:                              ;   Parent Loop BB2_40 Depth=1
                                        ; =>  This Inner Loop Header: Depth=2
	s_wait_alu 0xfffe
	s_add_co_i32 s23, s23, 1
	s_wait_alu 0xfffe
	s_cmp_lg_u32 s23, 0x2710
	s_cselect_b32 s24, -1, 0
	s_wait_alu 0xfffe
	s_and_b32 vcc_lo, exec_lo, s24
	s_wait_alu 0xfffe
	s_cbranch_vccz .LBB2_195
; %bb.194:                              ;   in Loop: Header=BB2_193 Depth=2
	s_mov_b32 s26, -1
	s_or_b32 s22, s22, exec_lo
	s_and_saveexec_b32 s25, s24
	s_cbranch_execz .LBB2_192
	s_branch .LBB2_196
.LBB2_195:                              ;   in Loop: Header=BB2_193 Depth=2
	s_trap 2
	ds_load_b64 v[17:18], v0
	s_and_not1_b32 s24, s24, exec_lo
	s_mov_b32 s23, 0
	s_wait_loadcnt_dscnt 0x0
	flat_load_b32 v17, v[17:18] scope:SCOPE_SYS
	s_wait_loadcnt_dscnt 0x0
	global_inv scope:SCOPE_SYS
	v_cmp_eq_u32_e32 vcc_lo, 0, v17
	s_and_b32 s25, vcc_lo, exec_lo
	s_wait_alu 0xfffe
	s_or_b32 s24, s24, s25
	s_mov_b32 s26, -1
	s_or_b32 s22, s22, exec_lo
	s_wait_alu 0xfffe
	s_and_saveexec_b32 s25, s24
	s_cbranch_execz .LBB2_192
.LBB2_196:                              ;   in Loop: Header=BB2_193 Depth=2
	s_sleep 1
	s_trap 2
	ds_load_b64 v[17:18], v0
	s_wait_dscnt 0x0
	global_inv scope:SCOPE_SE
	s_wait_alu 0xfffe
	s_and_not1_b32 s22, s22, exec_lo
	v_cmp_ge_u64_e32 vcc_lo, v[17:18], v[2:3]
	s_or_not1_b32 s26, vcc_lo, exec_lo
	s_branch .LBB2_192
.LBB2_197:                              ;   in Loop: Header=BB2_40 Depth=1
	s_or_b32 exec_lo, exec_lo, s20
	s_wait_alu 0xfffe
	s_and_saveexec_b32 s20, s21
	s_wait_alu 0xfffe
	s_xor_b32 s20, exec_lo, s20
	s_cbranch_execz .LBB2_199
; %bb.198:                              ;   in Loop: Header=BB2_40 Depth=1
	ds_store_b32 v0, v134
	s_trap 2
.LBB2_199:                              ;   in Loop: Header=BB2_40 Depth=1
	s_wait_alu 0xfffe
	s_or_b32 exec_lo, exec_lo, s14
	;;#ASMSTART
	s_wakeup
	;;#ASMEND
.LBB2_200:                              ;   in Loop: Header=BB2_40 Depth=1
	s_wait_alu 0xfffe
	s_or_b32 exec_lo, exec_lo, s11
.LBB2_201:                              ;   in Loop: Header=BB2_40 Depth=1
	s_wait_alu 0xfffe
	s_and_not1_saveexec_b32 s10, s10
	s_cbranch_execz .LBB2_203
; %bb.202:                              ;   in Loop: Header=BB2_40 Depth=1
	s_wait_storecnt 0x0
	s_wait_loadcnt_dscnt 0x0
	global_inv scope:SCOPE_DEV
	s_barrier_signal -1
	s_barrier_wait -1
.LBB2_203:                              ;   in Loop: Header=BB2_40 Depth=1
	s_wait_alu 0xfffe
	s_or_b32 exec_lo, exec_lo, s10
	s_delay_alu instid0(SALU_CYCLE_1)
	s_or_b32 exec_lo, exec_lo, s9
	s_and_saveexec_b32 s9, s6
	s_cbranch_execz .LBB2_39
.LBB2_204:                              ;   in Loop: Header=BB2_40 Depth=1
	v_add_co_u32 v50, vcc_lo, v50, 1
	s_wait_alu 0xfffd
	v_add_co_ci_u32_e64 v51, null, 0, v51, vcc_lo
	global_wb scope:SCOPE_SYS
	s_wait_storecnt 0x0
	s_wait_loadcnt_dscnt 0x0
	flat_store_b64 v[52:53], v[50:51] scope:SCOPE_SYS
	s_branch .LBB2_39
.LBB2_205:
	s_or_b32 exec_lo, exec_lo, s13
	s_delay_alu instid0(SALU_CYCLE_1)
	s_or_b32 exec_lo, exec_lo, s17
	s_and_saveexec_b32 s1, s16
	s_cbranch_execz .LBB2_24
.LBB2_206:
	s_wait_loadcnt_dscnt 0x0
	flat_store_b64 v[34:35], v[50:51] offset:104
	s_wait_alu 0xfffe
	s_or_b32 exec_lo, exec_lo, s1
	s_and_saveexec_b32 s1, s0
	s_cbranch_execnz .LBB2_25
	s_branch .LBB2_26
.LBB2_207:
	s_or_b32 exec_lo, exec_lo, s4
	s_wait_alu 0xfffe
	s_and_saveexec_b32 s4, s5
	s_wait_alu 0xfffe
	s_xor_b32 s4, exec_lo, s4
	s_cbranch_execz .LBB2_209
; %bb.208:
	v_mov_b32_e32 v0, 1
	ds_store_b32 v0, v0
	s_trap 2
.LBB2_209:
	s_wait_alu 0xfffe
	s_or_b32 exec_lo, exec_lo, s3
	;;#ASMSTART
	s_wakeup
	;;#ASMEND
.LBB2_210:
	s_wait_alu 0xfffe
	s_or_b32 exec_lo, exec_lo, s2
.LBB2_211:
	s_wait_alu 0xfffe
	s_and_not1_saveexec_b32 s1, s1
	s_cbranch_execz .LBB2_213
; %bb.212:
	s_wait_storecnt 0x0
	s_wait_loadcnt_dscnt 0x0
	global_inv scope:SCOPE_DEV
	s_barrier_signal -1
	s_barrier_wait -1
.LBB2_213:
	s_wait_alu 0xfffe
	s_or_b32 exec_lo, exec_lo, s0
	s_wait_loadcnt_dscnt 0x0
	s_setpc_b64 s[30:31]
.Lfunc_end2:
	.size	_ZN12_GLOBAL__N_17runRingIm14FuncSumPostDivImE7ProtoLLLi0ELi2ELi0EEEviiP15ncclDevWorkColl, .Lfunc_end2-_ZN12_GLOBAL__N_17runRingIm14FuncSumPostDivImE7ProtoLLLi0ELi2ELi0EEEviiP15ncclDevWorkColl
                                        ; -- End function
	.set .L_ZN12_GLOBAL__N_17runRingIm14FuncSumPostDivImE7ProtoLLLi0ELi2ELi0EEEviiP15ncclDevWorkColl.num_vgpr, 165
	.set .L_ZN12_GLOBAL__N_17runRingIm14FuncSumPostDivImE7ProtoLLLi0ELi2ELi0EEEviiP15ncclDevWorkColl.num_agpr, 0
	.set .L_ZN12_GLOBAL__N_17runRingIm14FuncSumPostDivImE7ProtoLLLi0ELi2ELi0EEEviiP15ncclDevWorkColl.numbered_sgpr, 41
	.set .L_ZN12_GLOBAL__N_17runRingIm14FuncSumPostDivImE7ProtoLLLi0ELi2ELi0EEEviiP15ncclDevWorkColl.num_named_barrier, 0
	.set .L_ZN12_GLOBAL__N_17runRingIm14FuncSumPostDivImE7ProtoLLLi0ELi2ELi0EEEviiP15ncclDevWorkColl.private_seg_size, 0
	.set .L_ZN12_GLOBAL__N_17runRingIm14FuncSumPostDivImE7ProtoLLLi0ELi2ELi0EEEviiP15ncclDevWorkColl.uses_vcc, 1
	.set .L_ZN12_GLOBAL__N_17runRingIm14FuncSumPostDivImE7ProtoLLLi0ELi2ELi0EEEviiP15ncclDevWorkColl.uses_flat_scratch, 1
	.set .L_ZN12_GLOBAL__N_17runRingIm14FuncSumPostDivImE7ProtoLLLi0ELi2ELi0EEEviiP15ncclDevWorkColl.has_dyn_sized_stack, 0
	.set .L_ZN12_GLOBAL__N_17runRingIm14FuncSumPostDivImE7ProtoLLLi0ELi2ELi0EEEviiP15ncclDevWorkColl.has_recursion, 0
	.set .L_ZN12_GLOBAL__N_17runRingIm14FuncSumPostDivImE7ProtoLLLi0ELi2ELi0EEEviiP15ncclDevWorkColl.has_indirect_call, 0
	.section	.AMDGPU.csdata,"",@progbits
; Function info:
; codeLenInByte = 13016
; TotalNumSgprs: 43
; NumVgprs: 165
; ScratchSize: 0
; MemoryBound: 0
	.text
	.p2align	2                               ; -- Begin function _Z54ncclDevFunc_ReduceScatter_RING_LL_SumPostDiv_u64_0_0_2v
	.type	_Z54ncclDevFunc_ReduceScatter_RING_LL_SumPostDiv_u64_0_0_2v,@function
_Z54ncclDevFunc_ReduceScatter_RING_LL_SumPostDiv_u64_0_0_2v: ; @_Z54ncclDevFunc_ReduceScatter_RING_LL_SumPostDiv_u64_0_0_2v
; %bb.0:
	s_wait_loadcnt_dscnt 0x0
	s_wait_expcnt 0x0
	s_wait_samplecnt 0x0
	s_wait_bvhcnt 0x0
	s_wait_kmcnt 0x0
	s_mov_b32 s46, s33
	s_mov_b32 s33, s32
	s_or_saveexec_b32 s0, -1
	scratch_store_b32 off, v40, s33         ; 4-byte Folded Spill
	s_wait_alu 0xfffe
	s_mov_b32 exec_lo, s0
	v_writelane_b32 v40, s30, 0
	s_add_co_i32 s32, s32, 16
	v_writelane_b32 v40, s31, 1
	s_trap 2
	ds_load_b32 v0, v0
	v_and_b32_e32 v165, 0x3ff, v31
	s_mov_b32 s41, s12
	s_mov_b64 s[42:43], s[8:9]
	s_mov_b32 s2, exec_lo
	s_wait_dscnt 0x0
	v_cmpx_lt_i32_e64 v165, v0
	s_cbranch_execz .LBB3_5
; %bb.1:
	s_load_b32 s0, s[42:43], 0x0
	s_mov_b32 s1, 0
	v_mov_b32_e32 v2, v165
                                        ; implicit-def: $vgpr3
	s_wait_kmcnt 0x0
	s_cmp_lt_u32 ttmp9, s0
	s_cselect_b32 s0, 12, 18
	s_wait_alu 0xfffe
	s_add_nc_u64 s[4:5], s[42:43], s[0:1]
	s_load_u16 s0, s[4:5], 0x0
	s_trap 2
	ds_load_b32 v1, v0
	s_wait_dscnt 0x0
	s_wait_kmcnt 0x0
	v_mul_lo_u32 v1, v1, s0
	s_branch .LBB3_3
.LBB3_2:                                ;   in Loop: Header=BB3_3 Depth=1
	s_wait_alu 0xfffe
	s_or_b32 exec_lo, exec_lo, s3
	v_add_nc_u32_e32 v2, s0, v2
	v_add_nc_u32_e32 v3, v3, v1
	s_delay_alu instid0(VALU_DEP_2)
	v_cmp_ge_i32_e32 vcc_lo, v2, v0
	s_or_b32 s1, vcc_lo, s1
	s_wait_alu 0xfffe
	s_and_not1_b32 exec_lo, exec_lo, s1
	s_cbranch_execz .LBB3_5
.LBB3_3:                                ; =>This Inner Loop Header: Depth=1
	ds_load_b32 v4, v3
	s_mov_b32 s3, exec_lo
	s_wait_dscnt 0x0
	v_and_b32_e32 v4, 0x1000000, v4
	s_delay_alu instid0(VALU_DEP_1)
	v_cmpx_ne_u32_e32 0, v4
	s_cbranch_execz .LBB3_2
; %bb.4:                                ;   in Loop: Header=BB3_3 Depth=1
	ds_load_b64 v[4:5], v3 offset:104
	s_wait_dscnt 0x0
	flat_load_b64 v[4:5], v[4:5]
	s_wait_loadcnt_dscnt 0x0
	ds_store_b64 v3, v[4:5] offset:104
	s_branch .LBB3_2
.LBB3_5:
	s_wait_alu 0xfffe
	s_or_b32 exec_lo, exec_lo, s2
	s_wait_storecnt_dscnt 0x0
	s_barrier_signal -1
	s_barrier_wait -1
	global_inv scope:SCOPE_SE
	s_trap 2
	ds_load_b32 v0, v0
	s_wait_dscnt 0x0
	v_cmp_gt_i32_e32 vcc_lo, 1, v0
	s_cbranch_vccnz .LBB3_13
; %bb.6:
	s_mov_b32 s44, 0
	s_branch .LBB3_8
.LBB3_7:                                ;   in Loop: Header=BB3_8 Depth=1
	s_wait_alu 0xfffe
	s_or_b32 exec_lo, exec_lo, s45
	s_trap 2
	ds_load_b32 v0, v0
	s_add_co_i32 s44, s44, 1
	s_wait_dscnt 0x0
	s_wait_alu 0xfffe
	v_cmp_lt_i32_e32 vcc_lo, s44, v0
	s_cbranch_vccz .LBB3_13
.LBB3_8:                                ; =>This Inner Loop Header: Depth=1
	s_trap 2
	ds_load_b32 v0, v0
	s_wait_alu 0xfffe
	s_cmp_eq_u32 s44, 0
	s_cbranch_scc1 .LBB3_11
; %bb.9:                                ;   in Loop: Header=BB3_8 Depth=1
	s_trap 2
	s_wait_dscnt 0x0
	ds_load_b32 v1, v0
	s_wait_dscnt 0x0
	v_xor_b32_e32 v1, v1, v0
	s_delay_alu instid0(VALU_DEP_1) | instskip(NEXT) | instid1(VALU_DEP_1)
	v_and_b32_e32 v1, 0xff0000, v1
	v_cmp_eq_u32_e32 vcc_lo, 0, v1
	s_cbranch_vccnz .LBB3_11
; %bb.10:                               ;   in Loop: Header=BB3_8 Depth=1
	s_wait_loadcnt 0x0
	s_barrier_signal -1
	s_barrier_wait -1
	global_inv scope:SCOPE_SE
	ds_load_b32 v0, v0
.LBB3_11:                               ;   in Loop: Header=BB3_8 Depth=1
	s_wait_dscnt 0x0
	v_lshrrev_b32_e32 v0, 11, v0
	s_mov_b32 s45, exec_lo
	s_delay_alu instid0(VALU_DEP_1) | instskip(NEXT) | instid1(VALU_DEP_1)
	v_and_b32_e32 v1, 0x1fe0, v0
	v_cmpx_lt_u32_e64 v165, v1
	s_cbranch_execz .LBB3_7
; %bb.12:                               ;   in Loop: Header=BB3_8 Depth=1
	s_mov_b64 s[0:1], src_shared_base
	s_wait_alu 0xfffe
	v_dual_mov_b32 v0, v165 :: v_dual_mov_b32 v3, s1
	s_getpc_b64 s[2:3]
	s_wait_alu 0xfffe
	s_sext_i32_i16 s3, s3
	s_add_co_u32 s2, s2, _ZN12_GLOBAL__N_17runRingIm14FuncSumPostDivImE7ProtoLLLi0ELi2ELi0EEEviiP15ncclDevWorkColl@rel32@lo+12
	s_wait_alu 0xfffe
	s_add_co_ci_u32 s3, s3, _ZN12_GLOBAL__N_17runRingIm14FuncSumPostDivImE7ProtoLLLi0ELi2ELi0EEEviiP15ncclDevWorkColl@rel32@hi+24
	s_mov_b64 s[8:9], s[42:43]
	s_mov_b32 s12, s41
	s_wait_alu 0xfffe
	s_swappc_b64 s[30:31], s[2:3]
	s_branch .LBB3_7
.LBB3_13:
	v_readlane_b32 s30, v40, 0
	v_readlane_b32 s31, v40, 1
	s_mov_b32 s32, s33
	s_or_saveexec_b32 s0, -1
	scratch_load_b32 v40, off, s33          ; 4-byte Folded Reload
	s_wait_alu 0xfffe
	s_mov_b32 exec_lo, s0
	s_mov_b32 s33, s46
	s_wait_loadcnt 0x0
	s_wait_alu 0xfffe
	s_setpc_b64 s[30:31]
.Lfunc_end3:
	.size	_Z54ncclDevFunc_ReduceScatter_RING_LL_SumPostDiv_u64_0_0_2v, .Lfunc_end3-_Z54ncclDevFunc_ReduceScatter_RING_LL_SumPostDiv_u64_0_0_2v
                                        ; -- End function
	.set .L_Z54ncclDevFunc_ReduceScatter_RING_LL_SumPostDiv_u64_0_0_2v.num_vgpr, max(166, .L_ZN12_GLOBAL__N_17runRingIm14FuncSumPostDivImE7ProtoLLLi0ELi2ELi0EEEviiP15ncclDevWorkColl.num_vgpr)
	.set .L_Z54ncclDevFunc_ReduceScatter_RING_LL_SumPostDiv_u64_0_0_2v.num_agpr, max(0, .L_ZN12_GLOBAL__N_17runRingIm14FuncSumPostDivImE7ProtoLLLi0ELi2ELi0EEEviiP15ncclDevWorkColl.num_agpr)
	.set .L_Z54ncclDevFunc_ReduceScatter_RING_LL_SumPostDiv_u64_0_0_2v.numbered_sgpr, max(47, .L_ZN12_GLOBAL__N_17runRingIm14FuncSumPostDivImE7ProtoLLLi0ELi2ELi0EEEviiP15ncclDevWorkColl.numbered_sgpr)
	.set .L_Z54ncclDevFunc_ReduceScatter_RING_LL_SumPostDiv_u64_0_0_2v.num_named_barrier, max(0, .L_ZN12_GLOBAL__N_17runRingIm14FuncSumPostDivImE7ProtoLLLi0ELi2ELi0EEEviiP15ncclDevWorkColl.num_named_barrier)
	.set .L_Z54ncclDevFunc_ReduceScatter_RING_LL_SumPostDiv_u64_0_0_2v.private_seg_size, 16+max(.L_ZN12_GLOBAL__N_17runRingIm14FuncSumPostDivImE7ProtoLLLi0ELi2ELi0EEEviiP15ncclDevWorkColl.private_seg_size)
	.set .L_Z54ncclDevFunc_ReduceScatter_RING_LL_SumPostDiv_u64_0_0_2v.uses_vcc, or(1, .L_ZN12_GLOBAL__N_17runRingIm14FuncSumPostDivImE7ProtoLLLi0ELi2ELi0EEEviiP15ncclDevWorkColl.uses_vcc)
	.set .L_Z54ncclDevFunc_ReduceScatter_RING_LL_SumPostDiv_u64_0_0_2v.uses_flat_scratch, or(0, .L_ZN12_GLOBAL__N_17runRingIm14FuncSumPostDivImE7ProtoLLLi0ELi2ELi0EEEviiP15ncclDevWorkColl.uses_flat_scratch)
	.set .L_Z54ncclDevFunc_ReduceScatter_RING_LL_SumPostDiv_u64_0_0_2v.has_dyn_sized_stack, or(0, .L_ZN12_GLOBAL__N_17runRingIm14FuncSumPostDivImE7ProtoLLLi0ELi2ELi0EEEviiP15ncclDevWorkColl.has_dyn_sized_stack)
	.set .L_Z54ncclDevFunc_ReduceScatter_RING_LL_SumPostDiv_u64_0_0_2v.has_recursion, or(1, .L_ZN12_GLOBAL__N_17runRingIm14FuncSumPostDivImE7ProtoLLLi0ELi2ELi0EEEviiP15ncclDevWorkColl.has_recursion)
	.set .L_Z54ncclDevFunc_ReduceScatter_RING_LL_SumPostDiv_u64_0_0_2v.has_indirect_call, or(0, .L_ZN12_GLOBAL__N_17runRingIm14FuncSumPostDivImE7ProtoLLLi0ELi2ELi0EEEviiP15ncclDevWorkColl.has_indirect_call)
	.section	.AMDGPU.csdata,"",@progbits
; Function info:
; codeLenInByte = 680
; TotalNumSgprs: 49
; NumVgprs: 166
; ScratchSize: 16
; MemoryBound: 0
	.text
	.p2align	2                               ; -- Begin function _ZN12_GLOBAL__N_17runRingIm14FuncSumPostDivImE7ProtoLLLi0ELi4ELi0EEEviiP15ncclDevWorkColl
	.type	_ZN12_GLOBAL__N_17runRingIm14FuncSumPostDivImE7ProtoLLLi0ELi4ELi0EEEviiP15ncclDevWorkColl,@function
_ZN12_GLOBAL__N_17runRingIm14FuncSumPostDivImE7ProtoLLLi0ELi4ELi0EEEviiP15ncclDevWorkColl: ; @_ZN12_GLOBAL__N_17runRingIm14FuncSumPostDivImE7ProtoLLLi0ELi4ELi0EEEviiP15ncclDevWorkColl
; %bb.0:
	s_wait_loadcnt_dscnt 0x0
	s_wait_expcnt 0x0
	s_wait_samplecnt 0x0
	s_wait_bvhcnt 0x0
	s_wait_kmcnt 0x0
	v_mov_b32_e32 v4, v0
	s_trap 2
	s_clause 0x2
	flat_load_b32 v0, v[2:3]
	flat_load_b128 v[5:8], v[2:3] offset:72
	flat_load_b64 v[19:20], v[2:3] offset:88
	s_mov_b32 s0, exec_lo
                                        ; implicit-def: $vgpr17_vgpr18
                                        ; implicit-def: $vgpr25_vgpr26
	s_wait_loadcnt_dscnt 0x202
	v_and_b32_e32 v11, 0xff, v0
	v_bfe_u32 v10, v0, 8, 8
	s_delay_alu instid0(VALU_DEP_2) | instskip(SKIP_3) | instid1(VALU_DEP_1)
	v_not_b32_e32 v0, v11
	ds_load_b32 v9, v0
	ds_load_b64 v[23:24], v0
	v_add_nc_u32_e32 v12, v10, v0
	v_ashrrev_i32_e32 v13, 31, v12
	s_wait_loadcnt_dscnt 0x103
	v_mul_lo_u32 v14, v8, v12
	v_mad_co_u64_u32 v[66:67], null, v7, v12, 0
	s_delay_alu instid0(VALU_DEP_3) | instskip(NEXT) | instid1(VALU_DEP_1)
	v_mul_lo_u32 v12, v7, v13
	v_add3_u32 v71, v67, v12, v14
	s_wait_dscnt 0x1
	v_readfirstlane_b32 s12, v9
	v_cmpx_ne_u32_e64 v9, v11
	s_wait_alu 0xfffe
	s_xor_b32 s0, exec_lo, s0
	s_cbranch_execz .LBB4_6
; %bb.1:
	s_mov_b32 s1, exec_lo
                                        ; implicit-def: $vgpr17_vgpr18
                                        ; implicit-def: $vgpr25_vgpr26
	v_cmpx_ne_u32_e64 v9, v10
	s_wait_alu 0xfffe
	s_xor_b32 s1, exec_lo, s1
	s_cbranch_execz .LBB4_3
; %bb.2:
	flat_load_b64 v[10:11], v[2:3] offset:96
	v_add_nc_u32_e32 v0, v9, v0
	s_delay_alu instid0(VALU_DEP_1) | instskip(SKIP_2) | instid1(VALU_DEP_3)
	v_ashrrev_i32_e32 v9, 31, v0
	v_mul_lo_u32 v12, v8, v0
	v_mad_co_u64_u32 v[25:26], null, v7, v0, v[5:6]
	v_mul_lo_u32 v9, v7, v9
	s_delay_alu instid0(VALU_DEP_1)
	v_add3_u32 v26, v12, v26, v9
	s_wait_loadcnt_dscnt 0x0
	v_lshrrev_b64 v[17:18], 20, v[10:11]
.LBB4_3:
	s_wait_alu 0xfffe
	s_and_not1_saveexec_b32 s1, s1
	s_cbranch_execz .LBB4_5
; %bb.4:
	flat_load_b32 v0, v[2:3] offset:100
	v_add_co_u32 v25, vcc_lo, v66, v5
	s_wait_alu 0xfffd
	v_add_co_ci_u32_e64 v26, null, v71, v6, vcc_lo
	s_wait_loadcnt 0x1
	v_dual_mov_b32 v7, v19 :: v_dual_mov_b32 v8, v20
	s_wait_loadcnt_dscnt 0x0
	v_lshrrev_b32_e32 v17, 9, v0
.LBB4_5:
	s_wait_alu 0xfffe
	s_or_b32 exec_lo, exec_lo, s1
.LBB4_6:
	s_wait_alu 0xfffe
	s_and_not1_saveexec_b32 s0, s0
	s_cbranch_execz .LBB4_8
; %bb.7:
	flat_load_b64 v[7:8], v[2:3] offset:96
	v_mov_b32_e32 v25, 0
	v_mov_b32_e32 v26, 0
	s_wait_loadcnt_dscnt 0x0
	v_lshlrev_b64_e32 v[17:18], 1, v[7:8]
	v_dual_mov_b32 v8, v6 :: v_dual_mov_b32 v7, v5
.LBB4_8:
	s_wait_alu 0xfffe
	s_or_b32 exec_lo, exec_lo, s0
	s_clause 0x3
	flat_load_b32 v0, v[2:3] offset:104
	flat_load_b128 v[9:12], v[2:3] offset:16
	flat_load_u16 v14, v[2:3] offset:8
	flat_load_b32 v13, v[2:3] offset:4
	v_mov_b32_e32 v29, -1
	v_mov_b32_e32 v30, -1
	s_mov_b32 s0, exec_lo
	v_mov_b32_e32 v28, 0
	s_wait_loadcnt_dscnt 0x303
	v_alignbit_b32 v18, v0, v0, 1
	s_delay_alu instid0(VALU_DEP_1) | instskip(NEXT) | instid1(VALU_DEP_1)
	v_and_b32_e32 v27, 0x7fffffff, v18
	v_cmpx_lt_i32_e32 0, v27
	s_cbranch_execz .LBB4_12
; %bb.9:
	v_dual_mov_b32 v15, 3 :: v_dual_mov_b32 v2, 0
	v_dual_mov_b32 v16, 0 :: v_dual_mov_b32 v3, 0
	s_mov_b32 s1, exec_lo
	v_cmpx_eq_u32_e32 1, v27
; %bb.10:
	v_dual_mov_b32 v15, 1 :: v_dual_mov_b32 v2, 0
	v_mov_b32_e32 v16, 0
	v_bfrev_b32_e32 v3, 1
; %bb.11:
	s_wait_alu 0xfffe
	s_or_b32 exec_lo, exec_lo, s1
	s_delay_alu instid0(VALU_DEP_2) | instskip(NEXT) | instid1(VALU_DEP_2)
	v_cmp_lt_u64_e32 vcc_lo, v[15:16], v[27:28]
	v_or_b32_e32 v0, 2.0, v3
	v_mov_b32_e32 v16, 0
	s_wait_alu 0xfffd
	s_delay_alu instid0(VALU_DEP_2) | instskip(SKIP_1) | instid1(VALU_DEP_1)
	v_cndmask_b32_e32 v0, v0, v3, vcc_lo
	v_cndmask_b32_e64 v3, v27, 0, vcc_lo
	v_sub_nc_u32_e32 v3, v15, v3
	s_delay_alu instid0(VALU_DEP_1) | instskip(NEXT) | instid1(VALU_DEP_4)
	v_lshl_or_b32 v15, v3, 1, 1
	v_or_b32_e32 v3, 0x20000000, v0
	s_delay_alu instid0(VALU_DEP_2) | instskip(SKIP_1) | instid1(VALU_DEP_2)
	v_cmp_lt_u64_e32 vcc_lo, v[15:16], v[27:28]
	s_wait_alu 0xfffd
	v_cndmask_b32_e32 v0, v3, v0, vcc_lo
	v_cndmask_b32_e64 v3, v27, 0, vcc_lo
	s_delay_alu instid0(VALU_DEP_1) | instskip(SKIP_3) | instid1(VALU_DEP_2)
	v_sub_co_u32 v15, s1, v15, v3
	s_wait_alu 0xf1ff
	v_sub_co_ci_u32_e64 v16, null, 0, 0, s1
	v_or_b32_e32 v3, 0x10000000, v0
	v_lshlrev_b64_e32 v[15:16], 1, v[15:16]
	s_delay_alu instid0(VALU_DEP_1) | instskip(NEXT) | instid1(VALU_DEP_1)
	v_or_b32_e32 v15, 1, v15
	v_cmp_lt_u64_e32 vcc_lo, v[15:16], v[27:28]
	s_wait_alu 0xfffd
	v_cndmask_b32_e32 v0, v3, v0, vcc_lo
	v_cndmask_b32_e64 v3, v27, 0, vcc_lo
	s_delay_alu instid0(VALU_DEP_1) | instskip(SKIP_3) | instid1(VALU_DEP_2)
	v_sub_co_u32 v15, vcc_lo, v15, v3
	s_wait_alu 0xfffd
	v_subrev_co_ci_u32_e64 v16, null, 0, v16, vcc_lo
	v_or_b32_e32 v3, 0x8000000, v0
	v_lshlrev_b64_e32 v[15:16], 1, v[15:16]
	s_delay_alu instid0(VALU_DEP_1) | instskip(NEXT) | instid1(VALU_DEP_1)
	v_or_b32_e32 v15, 1, v15
	v_cmp_lt_u64_e32 vcc_lo, v[15:16], v[27:28]
	s_wait_alu 0xfffd
	v_cndmask_b32_e32 v0, v3, v0, vcc_lo
	v_cndmask_b32_e64 v3, v27, 0, vcc_lo
	s_delay_alu instid0(VALU_DEP_1) | instskip(SKIP_3) | instid1(VALU_DEP_2)
	v_sub_co_u32 v15, vcc_lo, v15, v3
	s_wait_alu 0xfffd
	v_subrev_co_ci_u32_e64 v16, null, 0, v16, vcc_lo
	;; [unrolled: 12-line block ×28, first 2 shown]
	v_or_b32_e32 v3, 1, v0
	v_lshlrev_b64_e32 v[15:16], 1, v[15:16]
	s_delay_alu instid0(VALU_DEP_1) | instskip(NEXT) | instid1(VALU_DEP_1)
	v_or_b32_e32 v15, 1, v15
	v_cmp_lt_u64_e32 vcc_lo, v[15:16], v[27:28]
	s_wait_alu 0xfffd
	v_cndmask_b32_e32 v30, v3, v0, vcc_lo
	v_cndmask_b32_e64 v0, v27, 0, vcc_lo
	s_delay_alu instid0(VALU_DEP_1) | instskip(SKIP_2) | instid1(VALU_DEP_1)
	v_sub_co_u32 v15, vcc_lo, v15, v0
	s_wait_alu 0xfffd
	v_subrev_co_ci_u32_e64 v16, null, 0, v16, vcc_lo
	v_lshlrev_b64_e32 v[15:16], 1, v[15:16]
	s_delay_alu instid0(VALU_DEP_1) | instskip(NEXT) | instid1(VALU_DEP_1)
	v_or_b32_e32 v15, 1, v15
	v_cmp_lt_u64_e32 vcc_lo, v[15:16], v[27:28]
	s_wait_alu 0xfffd
	v_cndmask_b32_e64 v0, -|v2|, v2, vcc_lo
	v_cndmask_b32_e64 v2, v27, 0, vcc_lo
	s_delay_alu instid0(VALU_DEP_1) | instskip(SKIP_3) | instid1(VALU_DEP_2)
	v_sub_co_u32 v2, vcc_lo, v15, v2
	s_wait_alu 0xfffd
	v_subrev_co_ci_u32_e64 v3, null, 0, v16, vcc_lo
	v_or_b32_e32 v15, 2.0, v0
	v_lshlrev_b64_e32 v[2:3], 1, v[2:3]
	s_delay_alu instid0(VALU_DEP_1) | instskip(NEXT) | instid1(VALU_DEP_1)
	v_or_b32_e32 v2, 1, v2
	v_cmp_lt_u64_e32 vcc_lo, v[2:3], v[27:28]
	s_wait_alu 0xfffd
	v_cndmask_b32_e32 v0, v15, v0, vcc_lo
	v_cndmask_b32_e64 v15, v27, 0, vcc_lo
	s_delay_alu instid0(VALU_DEP_1) | instskip(SKIP_3) | instid1(VALU_DEP_2)
	v_sub_co_u32 v2, vcc_lo, v2, v15
	s_wait_alu 0xfffd
	v_subrev_co_ci_u32_e64 v3, null, 0, v3, vcc_lo
	v_or_b32_e32 v15, 0x20000000, v0
	v_lshlrev_b64_e32 v[2:3], 1, v[2:3]
	s_delay_alu instid0(VALU_DEP_1) | instskip(NEXT) | instid1(VALU_DEP_1)
	v_or_b32_e32 v2, 1, v2
	v_cmp_lt_u64_e32 vcc_lo, v[2:3], v[27:28]
	s_wait_alu 0xfffd
	v_cndmask_b32_e32 v0, v15, v0, vcc_lo
	v_cndmask_b32_e64 v15, v27, 0, vcc_lo
	s_delay_alu instid0(VALU_DEP_1) | instskip(SKIP_3) | instid1(VALU_DEP_2)
	v_sub_co_u32 v2, vcc_lo, v2, v15
	s_wait_alu 0xfffd
	v_subrev_co_ci_u32_e64 v3, null, 0, v3, vcc_lo
	v_or_b32_e32 v15, 0x10000000, v0
	v_lshlrev_b64_e32 v[2:3], 1, v[2:3]
	s_delay_alu instid0(VALU_DEP_1) | instskip(NEXT) | instid1(VALU_DEP_1)
	v_or_b32_e32 v2, 1, v2
	v_cmp_lt_u64_e32 vcc_lo, v[2:3], v[27:28]
	s_wait_alu 0xfffd
	v_cndmask_b32_e32 v0, v15, v0, vcc_lo
	v_cndmask_b32_e64 v15, v27, 0, vcc_lo
	s_delay_alu instid0(VALU_DEP_1) | instskip(SKIP_3) | instid1(VALU_DEP_2)
	v_sub_co_u32 v2, vcc_lo, v2, v15
	s_wait_alu 0xfffd
	v_subrev_co_ci_u32_e64 v3, null, 0, v3, vcc_lo
	v_or_b32_e32 v15, 0x8000000, v0
	v_lshlrev_b64_e32 v[2:3], 1, v[2:3]
	s_delay_alu instid0(VALU_DEP_1) | instskip(NEXT) | instid1(VALU_DEP_1)
	v_or_b32_e32 v2, 1, v2
	v_cmp_lt_u64_e32 vcc_lo, v[2:3], v[27:28]
	s_wait_alu 0xfffd
	v_cndmask_b32_e32 v0, v15, v0, vcc_lo
	v_cndmask_b32_e64 v15, v27, 0, vcc_lo
	s_delay_alu instid0(VALU_DEP_1) | instskip(SKIP_3) | instid1(VALU_DEP_2)
	v_sub_co_u32 v2, vcc_lo, v2, v15
	s_wait_alu 0xfffd
	v_subrev_co_ci_u32_e64 v3, null, 0, v3, vcc_lo
	v_or_b32_e32 v15, 0x4000000, v0
	v_lshlrev_b64_e32 v[2:3], 1, v[2:3]
	s_delay_alu instid0(VALU_DEP_1) | instskip(NEXT) | instid1(VALU_DEP_1)
	v_or_b32_e32 v2, 1, v2
	v_cmp_lt_u64_e32 vcc_lo, v[2:3], v[27:28]
	s_wait_alu 0xfffd
	v_cndmask_b32_e32 v0, v15, v0, vcc_lo
	v_cndmask_b32_e64 v15, v27, 0, vcc_lo
	s_delay_alu instid0(VALU_DEP_1) | instskip(SKIP_3) | instid1(VALU_DEP_2)
	v_sub_co_u32 v2, vcc_lo, v2, v15
	s_wait_alu 0xfffd
	v_subrev_co_ci_u32_e64 v3, null, 0, v3, vcc_lo
	v_or_b32_e32 v15, 0x2000000, v0
	v_lshlrev_b64_e32 v[2:3], 1, v[2:3]
	s_delay_alu instid0(VALU_DEP_1) | instskip(NEXT) | instid1(VALU_DEP_1)
	v_or_b32_e32 v2, 1, v2
	v_cmp_lt_u64_e32 vcc_lo, v[2:3], v[27:28]
	s_wait_alu 0xfffd
	v_cndmask_b32_e32 v0, v15, v0, vcc_lo
	v_cndmask_b32_e64 v15, v27, 0, vcc_lo
	s_delay_alu instid0(VALU_DEP_1) | instskip(SKIP_3) | instid1(VALU_DEP_2)
	v_sub_co_u32 v2, vcc_lo, v2, v15
	s_wait_alu 0xfffd
	v_subrev_co_ci_u32_e64 v3, null, 0, v3, vcc_lo
	v_or_b32_e32 v15, 0x1000000, v0
	v_lshlrev_b64_e32 v[2:3], 1, v[2:3]
	s_delay_alu instid0(VALU_DEP_1) | instskip(NEXT) | instid1(VALU_DEP_1)
	v_or_b32_e32 v2, 1, v2
	v_cmp_lt_u64_e32 vcc_lo, v[2:3], v[27:28]
	s_wait_alu 0xfffd
	v_cndmask_b32_e32 v0, v15, v0, vcc_lo
	v_cndmask_b32_e64 v15, v27, 0, vcc_lo
	s_delay_alu instid0(VALU_DEP_1) | instskip(SKIP_3) | instid1(VALU_DEP_2)
	v_sub_co_u32 v2, vcc_lo, v2, v15
	s_wait_alu 0xfffd
	v_subrev_co_ci_u32_e64 v3, null, 0, v3, vcc_lo
	v_or_b32_e32 v15, 0x800000, v0
	v_lshlrev_b64_e32 v[2:3], 1, v[2:3]
	s_delay_alu instid0(VALU_DEP_1) | instskip(NEXT) | instid1(VALU_DEP_1)
	v_or_b32_e32 v2, 1, v2
	v_cmp_lt_u64_e32 vcc_lo, v[2:3], v[27:28]
	s_wait_alu 0xfffd
	v_cndmask_b32_e32 v0, v15, v0, vcc_lo
	v_cndmask_b32_e64 v15, v27, 0, vcc_lo
	s_delay_alu instid0(VALU_DEP_1) | instskip(SKIP_3) | instid1(VALU_DEP_2)
	v_sub_co_u32 v2, vcc_lo, v2, v15
	s_wait_alu 0xfffd
	v_subrev_co_ci_u32_e64 v3, null, 0, v3, vcc_lo
	v_or_b32_e32 v15, 0x400000, v0
	v_lshlrev_b64_e32 v[2:3], 1, v[2:3]
	s_delay_alu instid0(VALU_DEP_1) | instskip(NEXT) | instid1(VALU_DEP_1)
	v_or_b32_e32 v2, 1, v2
	v_cmp_lt_u64_e32 vcc_lo, v[2:3], v[27:28]
	s_wait_alu 0xfffd
	v_cndmask_b32_e32 v0, v15, v0, vcc_lo
	v_cndmask_b32_e64 v15, v27, 0, vcc_lo
	s_delay_alu instid0(VALU_DEP_1) | instskip(SKIP_3) | instid1(VALU_DEP_2)
	v_sub_co_u32 v2, vcc_lo, v2, v15
	s_wait_alu 0xfffd
	v_subrev_co_ci_u32_e64 v3, null, 0, v3, vcc_lo
	v_or_b32_e32 v15, 0x200000, v0
	v_lshlrev_b64_e32 v[2:3], 1, v[2:3]
	s_delay_alu instid0(VALU_DEP_1) | instskip(NEXT) | instid1(VALU_DEP_1)
	v_or_b32_e32 v2, 1, v2
	v_cmp_lt_u64_e32 vcc_lo, v[2:3], v[27:28]
	s_wait_alu 0xfffd
	v_cndmask_b32_e32 v0, v15, v0, vcc_lo
	v_cndmask_b32_e64 v15, v27, 0, vcc_lo
	s_delay_alu instid0(VALU_DEP_1) | instskip(SKIP_3) | instid1(VALU_DEP_2)
	v_sub_co_u32 v2, vcc_lo, v2, v15
	s_wait_alu 0xfffd
	v_subrev_co_ci_u32_e64 v3, null, 0, v3, vcc_lo
	v_or_b32_e32 v15, 0x100000, v0
	v_lshlrev_b64_e32 v[2:3], 1, v[2:3]
	s_delay_alu instid0(VALU_DEP_1) | instskip(NEXT) | instid1(VALU_DEP_1)
	v_or_b32_e32 v2, 1, v2
	v_cmp_lt_u64_e32 vcc_lo, v[2:3], v[27:28]
	s_wait_alu 0xfffd
	v_cndmask_b32_e32 v0, v15, v0, vcc_lo
	v_cndmask_b32_e64 v15, v27, 0, vcc_lo
	s_delay_alu instid0(VALU_DEP_1) | instskip(SKIP_3) | instid1(VALU_DEP_2)
	v_sub_co_u32 v2, vcc_lo, v2, v15
	s_wait_alu 0xfffd
	v_subrev_co_ci_u32_e64 v3, null, 0, v3, vcc_lo
	v_or_b32_e32 v15, 0x80000, v0
	v_lshlrev_b64_e32 v[2:3], 1, v[2:3]
	s_delay_alu instid0(VALU_DEP_1) | instskip(NEXT) | instid1(VALU_DEP_1)
	v_or_b32_e32 v2, 1, v2
	v_cmp_lt_u64_e32 vcc_lo, v[2:3], v[27:28]
	s_wait_alu 0xfffd
	v_cndmask_b32_e32 v0, v15, v0, vcc_lo
	v_cndmask_b32_e64 v15, v27, 0, vcc_lo
	s_delay_alu instid0(VALU_DEP_1) | instskip(SKIP_3) | instid1(VALU_DEP_2)
	v_sub_co_u32 v2, vcc_lo, v2, v15
	s_wait_alu 0xfffd
	v_subrev_co_ci_u32_e64 v3, null, 0, v3, vcc_lo
	v_or_b32_e32 v15, 0x40000, v0
	v_lshlrev_b64_e32 v[2:3], 1, v[2:3]
	s_delay_alu instid0(VALU_DEP_1) | instskip(NEXT) | instid1(VALU_DEP_1)
	v_or_b32_e32 v2, 1, v2
	v_cmp_lt_u64_e32 vcc_lo, v[2:3], v[27:28]
	s_wait_alu 0xfffd
	v_cndmask_b32_e32 v0, v15, v0, vcc_lo
	v_cndmask_b32_e64 v15, v27, 0, vcc_lo
	s_delay_alu instid0(VALU_DEP_1) | instskip(SKIP_3) | instid1(VALU_DEP_2)
	v_sub_co_u32 v2, vcc_lo, v2, v15
	s_wait_alu 0xfffd
	v_subrev_co_ci_u32_e64 v3, null, 0, v3, vcc_lo
	v_or_b32_e32 v15, 0x20000, v0
	v_lshlrev_b64_e32 v[2:3], 1, v[2:3]
	s_delay_alu instid0(VALU_DEP_1) | instskip(NEXT) | instid1(VALU_DEP_1)
	v_or_b32_e32 v2, 1, v2
	v_cmp_lt_u64_e32 vcc_lo, v[2:3], v[27:28]
	s_wait_alu 0xfffd
	v_cndmask_b32_e32 v0, v15, v0, vcc_lo
	v_cndmask_b32_e64 v15, v27, 0, vcc_lo
	s_delay_alu instid0(VALU_DEP_1) | instskip(SKIP_3) | instid1(VALU_DEP_2)
	v_sub_co_u32 v2, vcc_lo, v2, v15
	s_wait_alu 0xfffd
	v_subrev_co_ci_u32_e64 v3, null, 0, v3, vcc_lo
	v_or_b32_e32 v15, 0x10000, v0
	v_lshlrev_b64_e32 v[2:3], 1, v[2:3]
	s_delay_alu instid0(VALU_DEP_1) | instskip(NEXT) | instid1(VALU_DEP_1)
	v_or_b32_e32 v2, 1, v2
	v_cmp_lt_u64_e32 vcc_lo, v[2:3], v[27:28]
	s_wait_alu 0xfffd
	v_cndmask_b32_e32 v0, v15, v0, vcc_lo
	v_cndmask_b32_e64 v15, v27, 0, vcc_lo
	s_delay_alu instid0(VALU_DEP_1) | instskip(SKIP_3) | instid1(VALU_DEP_2)
	v_sub_co_u32 v2, vcc_lo, v2, v15
	s_wait_alu 0xfffd
	v_subrev_co_ci_u32_e64 v3, null, 0, v3, vcc_lo
	v_or_b32_e32 v15, 0x8000, v0
	v_lshlrev_b64_e32 v[2:3], 1, v[2:3]
	s_delay_alu instid0(VALU_DEP_1) | instskip(NEXT) | instid1(VALU_DEP_1)
	v_or_b32_e32 v2, 1, v2
	v_cmp_lt_u64_e32 vcc_lo, v[2:3], v[27:28]
	s_wait_alu 0xfffd
	v_cndmask_b32_e32 v0, v15, v0, vcc_lo
	v_cndmask_b32_e64 v15, v27, 0, vcc_lo
	s_delay_alu instid0(VALU_DEP_1) | instskip(SKIP_3) | instid1(VALU_DEP_2)
	v_sub_co_u32 v2, vcc_lo, v2, v15
	s_wait_alu 0xfffd
	v_subrev_co_ci_u32_e64 v3, null, 0, v3, vcc_lo
	v_or_b32_e32 v15, 0x4000, v0
	v_lshlrev_b64_e32 v[2:3], 1, v[2:3]
	s_delay_alu instid0(VALU_DEP_1) | instskip(NEXT) | instid1(VALU_DEP_1)
	v_or_b32_e32 v2, 1, v2
	v_cmp_lt_u64_e32 vcc_lo, v[2:3], v[27:28]
	s_wait_alu 0xfffd
	v_cndmask_b32_e32 v0, v15, v0, vcc_lo
	v_cndmask_b32_e64 v15, v27, 0, vcc_lo
	s_delay_alu instid0(VALU_DEP_1) | instskip(SKIP_3) | instid1(VALU_DEP_2)
	v_sub_co_u32 v2, vcc_lo, v2, v15
	s_wait_alu 0xfffd
	v_subrev_co_ci_u32_e64 v3, null, 0, v3, vcc_lo
	v_or_b32_e32 v15, 0x2000, v0
	v_lshlrev_b64_e32 v[2:3], 1, v[2:3]
	s_delay_alu instid0(VALU_DEP_1) | instskip(NEXT) | instid1(VALU_DEP_1)
	v_or_b32_e32 v2, 1, v2
	v_cmp_lt_u64_e32 vcc_lo, v[2:3], v[27:28]
	s_wait_alu 0xfffd
	v_cndmask_b32_e32 v0, v15, v0, vcc_lo
	v_cndmask_b32_e64 v15, v27, 0, vcc_lo
	s_delay_alu instid0(VALU_DEP_1) | instskip(SKIP_3) | instid1(VALU_DEP_2)
	v_sub_co_u32 v2, vcc_lo, v2, v15
	s_wait_alu 0xfffd
	v_subrev_co_ci_u32_e64 v3, null, 0, v3, vcc_lo
	v_or_b32_e32 v15, 0x1000, v0
	v_lshlrev_b64_e32 v[2:3], 1, v[2:3]
	s_delay_alu instid0(VALU_DEP_1) | instskip(NEXT) | instid1(VALU_DEP_1)
	v_or_b32_e32 v2, 1, v2
	v_cmp_lt_u64_e32 vcc_lo, v[2:3], v[27:28]
	s_wait_alu 0xfffd
	v_cndmask_b32_e32 v0, v15, v0, vcc_lo
	v_cndmask_b32_e64 v15, v27, 0, vcc_lo
	s_delay_alu instid0(VALU_DEP_1) | instskip(SKIP_3) | instid1(VALU_DEP_2)
	v_sub_co_u32 v2, vcc_lo, v2, v15
	s_wait_alu 0xfffd
	v_subrev_co_ci_u32_e64 v3, null, 0, v3, vcc_lo
	v_or_b32_e32 v15, 0x800, v0
	v_lshlrev_b64_e32 v[2:3], 1, v[2:3]
	s_delay_alu instid0(VALU_DEP_1) | instskip(NEXT) | instid1(VALU_DEP_1)
	v_or_b32_e32 v2, 1, v2
	v_cmp_lt_u64_e32 vcc_lo, v[2:3], v[27:28]
	s_wait_alu 0xfffd
	v_cndmask_b32_e32 v0, v15, v0, vcc_lo
	v_cndmask_b32_e64 v15, v27, 0, vcc_lo
	s_delay_alu instid0(VALU_DEP_1) | instskip(SKIP_3) | instid1(VALU_DEP_2)
	v_sub_co_u32 v2, vcc_lo, v2, v15
	s_wait_alu 0xfffd
	v_subrev_co_ci_u32_e64 v3, null, 0, v3, vcc_lo
	v_or_b32_e32 v15, 0x400, v0
	v_lshlrev_b64_e32 v[2:3], 1, v[2:3]
	s_delay_alu instid0(VALU_DEP_1) | instskip(NEXT) | instid1(VALU_DEP_1)
	v_or_b32_e32 v2, 1, v2
	v_cmp_lt_u64_e32 vcc_lo, v[2:3], v[27:28]
	s_wait_alu 0xfffd
	v_cndmask_b32_e32 v0, v15, v0, vcc_lo
	v_cndmask_b32_e64 v15, v27, 0, vcc_lo
	s_delay_alu instid0(VALU_DEP_1) | instskip(SKIP_3) | instid1(VALU_DEP_2)
	v_sub_co_u32 v2, vcc_lo, v2, v15
	s_wait_alu 0xfffd
	v_subrev_co_ci_u32_e64 v3, null, 0, v3, vcc_lo
	v_or_b32_e32 v15, 0x200, v0
	v_lshlrev_b64_e32 v[2:3], 1, v[2:3]
	s_delay_alu instid0(VALU_DEP_1) | instskip(NEXT) | instid1(VALU_DEP_1)
	v_or_b32_e32 v2, 1, v2
	v_cmp_lt_u64_e32 vcc_lo, v[2:3], v[27:28]
	s_wait_alu 0xfffd
	v_cndmask_b32_e32 v0, v15, v0, vcc_lo
	v_cndmask_b32_e64 v15, v27, 0, vcc_lo
	s_delay_alu instid0(VALU_DEP_1) | instskip(SKIP_3) | instid1(VALU_DEP_2)
	v_sub_co_u32 v2, vcc_lo, v2, v15
	s_wait_alu 0xfffd
	v_subrev_co_ci_u32_e64 v3, null, 0, v3, vcc_lo
	v_or_b32_e32 v15, 0x100, v0
	v_lshlrev_b64_e32 v[2:3], 1, v[2:3]
	s_delay_alu instid0(VALU_DEP_1) | instskip(NEXT) | instid1(VALU_DEP_1)
	v_or_b32_e32 v2, 1, v2
	v_cmp_lt_u64_e32 vcc_lo, v[2:3], v[27:28]
	s_wait_alu 0xfffd
	v_cndmask_b32_e32 v0, v15, v0, vcc_lo
	v_cndmask_b32_e64 v15, v27, 0, vcc_lo
	s_delay_alu instid0(VALU_DEP_1) | instskip(SKIP_3) | instid1(VALU_DEP_2)
	v_sub_co_u32 v2, vcc_lo, v2, v15
	s_wait_alu 0xfffd
	v_subrev_co_ci_u32_e64 v3, null, 0, v3, vcc_lo
	v_or_b32_e32 v15, 0x80, v0
	v_lshlrev_b64_e32 v[2:3], 1, v[2:3]
	s_delay_alu instid0(VALU_DEP_1) | instskip(NEXT) | instid1(VALU_DEP_1)
	v_or_b32_e32 v2, 1, v2
	v_cmp_lt_u64_e32 vcc_lo, v[2:3], v[27:28]
	s_wait_alu 0xfffd
	v_cndmask_b32_e32 v0, v15, v0, vcc_lo
	v_cndmask_b32_e64 v15, v27, 0, vcc_lo
	s_delay_alu instid0(VALU_DEP_1) | instskip(SKIP_3) | instid1(VALU_DEP_2)
	v_sub_co_u32 v2, vcc_lo, v2, v15
	s_wait_alu 0xfffd
	v_subrev_co_ci_u32_e64 v3, null, 0, v3, vcc_lo
	v_or_b32_e32 v15, 64, v0
	v_lshlrev_b64_e32 v[2:3], 1, v[2:3]
	s_delay_alu instid0(VALU_DEP_1) | instskip(NEXT) | instid1(VALU_DEP_1)
	v_or_b32_e32 v2, 1, v2
	v_cmp_lt_u64_e32 vcc_lo, v[2:3], v[27:28]
	s_wait_alu 0xfffd
	v_cndmask_b32_e32 v0, v15, v0, vcc_lo
	v_cndmask_b32_e64 v15, v27, 0, vcc_lo
	s_delay_alu instid0(VALU_DEP_1) | instskip(SKIP_3) | instid1(VALU_DEP_2)
	v_sub_co_u32 v2, vcc_lo, v2, v15
	s_wait_alu 0xfffd
	v_subrev_co_ci_u32_e64 v3, null, 0, v3, vcc_lo
	v_or_b32_e32 v15, 32, v0
	v_lshlrev_b64_e32 v[2:3], 1, v[2:3]
	s_delay_alu instid0(VALU_DEP_1) | instskip(NEXT) | instid1(VALU_DEP_1)
	v_or_b32_e32 v2, 1, v2
	v_cmp_lt_u64_e32 vcc_lo, v[2:3], v[27:28]
	s_wait_alu 0xfffd
	v_cndmask_b32_e32 v0, v15, v0, vcc_lo
	v_cndmask_b32_e64 v15, v27, 0, vcc_lo
	s_delay_alu instid0(VALU_DEP_1) | instskip(SKIP_3) | instid1(VALU_DEP_2)
	v_sub_co_u32 v2, vcc_lo, v2, v15
	s_wait_alu 0xfffd
	v_subrev_co_ci_u32_e64 v3, null, 0, v3, vcc_lo
	v_or_b32_e32 v15, 16, v0
	v_lshlrev_b64_e32 v[2:3], 1, v[2:3]
	s_delay_alu instid0(VALU_DEP_1) | instskip(NEXT) | instid1(VALU_DEP_1)
	v_or_b32_e32 v2, 1, v2
	v_cmp_lt_u64_e32 vcc_lo, v[2:3], v[27:28]
	s_wait_alu 0xfffd
	v_cndmask_b32_e32 v0, v15, v0, vcc_lo
	v_cndmask_b32_e64 v15, v27, 0, vcc_lo
	s_delay_alu instid0(VALU_DEP_1) | instskip(SKIP_3) | instid1(VALU_DEP_2)
	v_sub_co_u32 v2, vcc_lo, v2, v15
	s_wait_alu 0xfffd
	v_subrev_co_ci_u32_e64 v3, null, 0, v3, vcc_lo
	v_or_b32_e32 v15, 8, v0
	v_lshlrev_b64_e32 v[2:3], 1, v[2:3]
	s_delay_alu instid0(VALU_DEP_1) | instskip(NEXT) | instid1(VALU_DEP_1)
	v_or_b32_e32 v2, 1, v2
	v_cmp_lt_u64_e32 vcc_lo, v[2:3], v[27:28]
	s_wait_alu 0xfffd
	v_cndmask_b32_e32 v0, v15, v0, vcc_lo
	v_cndmask_b32_e64 v15, v27, 0, vcc_lo
	s_delay_alu instid0(VALU_DEP_1) | instskip(SKIP_3) | instid1(VALU_DEP_2)
	v_sub_co_u32 v2, vcc_lo, v2, v15
	s_wait_alu 0xfffd
	v_subrev_co_ci_u32_e64 v3, null, 0, v3, vcc_lo
	v_or_b32_e32 v15, 4, v0
	v_lshlrev_b64_e32 v[2:3], 1, v[2:3]
	s_delay_alu instid0(VALU_DEP_1) | instskip(NEXT) | instid1(VALU_DEP_1)
	v_or_b32_e32 v2, 1, v2
	v_cmp_lt_u64_e32 vcc_lo, v[2:3], v[27:28]
	s_wait_alu 0xfffd
	v_cndmask_b32_e32 v0, v15, v0, vcc_lo
	v_cndmask_b32_e64 v15, v27, 0, vcc_lo
	s_delay_alu instid0(VALU_DEP_1) | instskip(SKIP_3) | instid1(VALU_DEP_2)
	v_sub_co_u32 v2, vcc_lo, v2, v15
	s_wait_alu 0xfffd
	v_subrev_co_ci_u32_e64 v3, null, 0, v3, vcc_lo
	v_or_b32_e32 v15, 2, v0
	v_lshlrev_b64_e32 v[2:3], 1, v[2:3]
	s_delay_alu instid0(VALU_DEP_1) | instskip(NEXT) | instid1(VALU_DEP_1)
	v_or_b32_e32 v2, 1, v2
	v_cmp_lt_u64_e32 vcc_lo, v[2:3], v[27:28]
	s_wait_alu 0xfffd
	v_cndmask_b32_e32 v0, v15, v0, vcc_lo
	v_cndmask_b32_e64 v15, v27, 0, vcc_lo
	s_delay_alu instid0(VALU_DEP_1) | instskip(SKIP_2) | instid1(VALU_DEP_1)
	v_sub_co_u32 v2, vcc_lo, v2, v15
	s_wait_alu 0xfffd
	v_subrev_co_ci_u32_e64 v3, null, 0, v3, vcc_lo
	v_lshlrev_b64_e32 v[2:3], 1, v[2:3]
	s_delay_alu instid0(VALU_DEP_1) | instskip(NEXT) | instid1(VALU_DEP_1)
	v_or_b32_e32 v2, 1, v2
	v_cmp_ge_u64_e32 vcc_lo, v[2:3], v[27:28]
	s_wait_alu 0xfffd
	v_cndmask_b32_e64 v2, 0, 1, vcc_lo
	s_delay_alu instid0(VALU_DEP_1)
	v_or_b32_e32 v29, v0, v2
.LBB4_12:
	s_wait_alu 0xfffe
	s_or_b32 exec_lo, exec_lo, s0
	s_load_b32 s0, s[8:9], 0x0
	v_dual_mov_b32 v3, 0 :: v_dual_and_b32 v50, 31, v4
	s_mov_b32 s1, 0
	s_wait_loadcnt_dscnt 0x0
	v_lshrrev_b64 v[13:14], 31, v[13:14]
	v_mov_b32_e32 v32, 0
	v_mov_b32_e32 v33, 0
	s_delay_alu instid0(VALU_DEP_3) | instskip(NEXT) | instid1(VALU_DEP_1)
	v_and_b32_e32 v13, 3, v13
	v_and_b32_e32 v15, 0xffff, v13
	s_wait_kmcnt 0x0
	s_cmp_lt_u32 ttmp9, s0
	s_cselect_b32 s0, 12, 18
	s_wait_alu 0xfffe
	s_add_nc_u64 s[2:3], s[8:9], s[0:1]
	v_cmp_eq_u32_e64 s0, 0, v50
	global_load_u16 v0, v3, s[2:3]
	s_trap 2
	s_wait_loadcnt 0x0
	ds_load_b32 v2, v0
	s_wait_dscnt 0x0
	v_cmp_gt_i32_e32 vcc_lo, 0, v2
	v_readfirstlane_b32 s2, v2
	s_cbranch_vccnz .LBB4_14
; %bb.13:
	s_trap 2
	ds_load_b64 v[13:14], v0
	v_lshlrev_b64_e32 v[2:3], 3, v[2:3]
	s_mov_b32 s1, 1
	s_wait_dscnt 0x0
	s_delay_alu instid0(VALU_DEP_1) | instskip(SKIP_1) | instid1(VALU_DEP_2)
	v_add_co_u32 v2, vcc_lo, v13, v2
	s_wait_alu 0xfffd
	v_add_co_ci_u32_e64 v3, null, v14, v3, vcc_lo
	flat_load_b64 v[2:3], v[2:3]
	s_wait_loadcnt_dscnt 0x0
	v_mad_co_u64_u32 v[2:3], null, 0xa8, v15, v[2:3]
	s_clause 0x1
	flat_load_b64 v[36:37], v[2:3] offset:504
	flat_load_b64 v[38:39], v[2:3] offset:608
	v_add_co_u32 v34, vcc_lo, 0x1f8, v2
	s_wait_alu 0xfffd
	v_add_co_ci_u32_e64 v35, null, 0, v3, vcc_lo
	s_wait_alu 0xf1ff
	s_delay_alu instid0(VALU_DEP_2) | instskip(NEXT) | instid1(VALU_DEP_2)
	v_cndmask_b32_e64 v2, 0, v34, s0
	v_cndmask_b32_e64 v3, 0, v35, s0
	s_branch .LBB4_15
.LBB4_14:
	v_mov_b32_e32 v34, 0
	v_dual_mov_b32 v35, 0 :: v_dual_mov_b32 v2, 0
	v_mov_b32_e32 v3, 0
                                        ; implicit-def: $vgpr38_vgpr39
                                        ; implicit-def: $vgpr36_vgpr37
.LBB4_15:
	s_trap 2
	ds_load_b32 v13, v0
	s_wait_dscnt 0x0
	v_cmp_gt_i32_e32 vcc_lo, 0, v13
	s_cbranch_vccnz .LBB4_17
; %bb.16:
	s_trap 2
	ds_load_b64 v[21:22], v0
	v_mov_b32_e32 v14, 0
	s_delay_alu instid0(VALU_DEP_1) | instskip(SKIP_1) | instid1(VALU_DEP_1)
	v_lshlrev_b64_e32 v[13:14], 3, v[13:14]
	s_wait_dscnt 0x0
	v_add_co_u32 v13, vcc_lo, v21, v13
	s_wait_alu 0xfffd
	s_delay_alu instid0(VALU_DEP_2)
	v_add_co_ci_u32_e64 v14, null, v22, v14, vcc_lo
	v_cmp_eq_u32_e32 vcc_lo, 0, v50
	flat_load_b64 v[13:14], v[13:14]
	s_wait_loadcnt_dscnt 0x0
	v_mad_co_u64_u32 v[32:33], null, 0xa8, v15, v[13:14]
	s_clause 0x1
	flat_load_b64 v[48:49], v[32:33]
	flat_load_b64 v[21:22], v[32:33] offset:104
	s_wait_alu 0xfffd
	v_dual_cndmask_b32 v16, 0, v33 :: v_dual_cndmask_b32 v15, 0, v32
	s_branch .LBB4_18
.LBB4_17:
	v_mov_b32_e32 v15, 0
	v_mov_b32_e32 v16, 0
                                        ; implicit-def: $vgpr21_vgpr22
                                        ; implicit-def: $vgpr48_vgpr49
.LBB4_18:
	v_subrev_nc_u32_e32 v13, 32, v1
	s_wait_alu 0xfffe
	v_cmp_gt_u32_e32 vcc_lo, s1, v50
                                        ; implicit-def: $vgpr50_vgpr51
	v_mov_b32_e32 v52, 0
	v_mov_b32_e32 v53, 0
	v_cmp_ge_i32_e64 s0, v4, v13
	v_mov_b32_e32 v13, 0
	v_mov_b32_e32 v14, 0
	s_and_b32 s16, s0, vcc_lo
	s_wait_alu 0xfffe
	s_and_saveexec_b32 s0, s16
	s_cbranch_execz .LBB4_20
; %bb.19:
	s_clause 0x1
	flat_load_b64 v[52:53], v[2:3] offset:56
	flat_load_b64 v[50:51], v[2:3] offset:104
.LBB4_20:
	s_wait_alu 0xfffe
	s_or_b32 exec_lo, exec_lo, s0
	v_mov_b32_e32 v54, 0
	v_mov_b32_e32 v55, 0
	v_cmp_gt_u32_e64 s0, s1, v4
                                        ; implicit-def: $vgpr64_vgpr65
	s_and_saveexec_b32 s1, s0
	s_cbranch_execz .LBB4_22
; %bb.21:
	flat_load_b64 v[54:55], v[15:16] offset:56
	s_wait_loadcnt_dscnt 0x0
	flat_load_b64 v[64:65], v[54:55] scope:SCOPE_SYS
	s_wait_loadcnt 0x0
	flat_load_b128 v[13:16], v[15:16] offset:96
.LBB4_22:
	s_wait_alu 0xfffe
	s_or_b32 exec_lo, exec_lo, s1
	v_mov_b32_e32 v2, 0
	v_dual_mov_b32 v3, 0 :: v_dual_and_b32 v0, 0xffff, v0
	s_mov_b32 s17, exec_lo
	v_cmpx_ne_u64_e32 0, v[7:8]
	s_cbranch_execnz .LBB4_38
; %bb.23:
	s_wait_alu 0xfffe
	s_or_b32 exec_lo, exec_lo, s17
	s_and_saveexec_b32 s1, s16
	s_cbranch_execnz .LBB4_206
.LBB4_24:
	s_wait_alu 0xfffe
	s_or_b32 exec_lo, exec_lo, s1
	s_and_saveexec_b32 s1, s0
	s_cbranch_execz .LBB4_26
.LBB4_25:
	s_wait_loadcnt_dscnt 0x0
	flat_store_b64 v[32:33], v[15:16] offset:104
.LBB4_26:
	s_wait_alu 0xfffe
	s_or_b32 exec_lo, exec_lo, s1
	s_delay_alu instid0(SALU_CYCLE_1)
	s_mov_b32 s0, exec_lo
	v_cmpx_ne_u32_e32 32, v1
	s_cbranch_execz .LBB4_213
; %bb.27:
	s_mov_b32 s1, exec_lo
	v_cmpx_ne_u32_e64 v1, v0
	s_wait_alu 0xfffe
	s_xor_b32 s1, exec_lo, s1
	s_cbranch_execz .LBB4_211
; %bb.28:
	v_and_b32_e32 v0, 31, v31
	s_mov_b32 s2, exec_lo
	s_delay_alu instid0(VALU_DEP_1)
	v_cmpx_eq_u32_e32 0, v0
	s_cbranch_execz .LBB4_210
; %bb.29:
	s_mov_b32 s4, exec_lo
	s_mov_b32 s3, exec_lo
	s_wait_alu 0xfffe
	v_mbcnt_lo_u32_b32 v0, s4, 0
	s_wait_storecnt 0x0
	s_wait_loadcnt_dscnt 0x0
	global_inv scope:SCOPE_DEV
	v_cmpx_eq_u32_e32 0, v0
	s_cbranch_execz .LBB4_31
; %bb.30:
	s_bcnt1_i32_b32 s4, s4
	s_wait_alu 0xfffe
	v_dual_mov_b32 v5, 0 :: v_dual_mov_b32 v4, s4
	s_wait_loadcnt 0x0
	ds_add_u64 v0, v[4:5]
	s_trap 2
.LBB4_31:
	s_or_b32 exec_lo, exec_lo, s3
	s_trap 2
	ds_load_b64 v[4:5], v0
	s_wait_dscnt 0x0
	global_inv scope:SCOPE_SE
	v_lshrrev_b32_e32 v0, 5, v1
	s_mov_b32 s3, exec_lo
	s_delay_alu instid0(VALU_DEP_1) | instskip(SKIP_2) | instid1(VALU_DEP_1)
	v_add_co_u32 v0, vcc_lo, v2, v0
	s_wait_alu 0xfffd
	v_add_co_ci_u32_e64 v1, null, 0, v3, vcc_lo
	v_cmpx_lt_u64_e64 v[4:5], v[0:1]
	s_cbranch_execz .LBB4_209
; %bb.32:
	s_mov_b32 s4, 0
	s_mov_b32 s7, 0
                                        ; implicit-def: $sgpr5
                                        ; implicit-def: $sgpr6
	s_branch .LBB4_34
.LBB4_33:                               ;   in Loop: Header=BB4_34 Depth=1
	s_wait_alu 0xfffe
	s_or_b32 exec_lo, exec_lo, s9
	s_delay_alu instid0(SALU_CYCLE_1)
	s_and_b32 s8, exec_lo, s10
	s_wait_alu 0xfffe
	s_or_b32 s4, s8, s4
	s_and_not1_b32 s5, s5, exec_lo
	s_and_b32 s8, s6, exec_lo
	s_wait_alu 0xfffe
	s_or_b32 s5, s5, s8
	s_and_not1_b32 exec_lo, exec_lo, s4
	s_cbranch_execz .LBB4_207
.LBB4_34:                               ; =>This Inner Loop Header: Depth=1
	s_wait_alu 0xfffe
	s_add_co_i32 s7, s7, 1
	s_wait_alu 0xfffe
	s_cmp_lg_u32 s7, 0x2710
	s_cselect_b32 s8, -1, 0
	s_wait_alu 0xfffe
	s_and_b32 vcc_lo, exec_lo, s8
	s_wait_alu 0xfffe
	s_cbranch_vccz .LBB4_36
; %bb.35:                               ;   in Loop: Header=BB4_34 Depth=1
	s_mov_b32 s10, -1
	s_or_b32 s6, s6, exec_lo
	s_and_saveexec_b32 s9, s8
	s_cbranch_execz .LBB4_33
	s_branch .LBB4_37
.LBB4_36:                               ;   in Loop: Header=BB4_34 Depth=1
	s_trap 2
	ds_load_b64 v[2:3], v0
	s_and_not1_b32 s8, s8, exec_lo
	s_mov_b32 s7, 0
	s_wait_loadcnt_dscnt 0x0
	flat_load_b32 v2, v[2:3] scope:SCOPE_SYS
	s_wait_loadcnt_dscnt 0x0
	global_inv scope:SCOPE_SYS
	v_cmp_eq_u32_e32 vcc_lo, 0, v2
	s_and_b32 s9, vcc_lo, exec_lo
	s_wait_alu 0xfffe
	s_or_b32 s8, s8, s9
	s_mov_b32 s10, -1
	s_or_b32 s6, s6, exec_lo
	s_wait_alu 0xfffe
	s_and_saveexec_b32 s9, s8
	s_cbranch_execz .LBB4_33
.LBB4_37:                               ;   in Loop: Header=BB4_34 Depth=1
	s_sleep 1
	s_trap 2
	ds_load_b64 v[2:3], v0
	s_wait_dscnt 0x0
	global_inv scope:SCOPE_SE
	s_wait_alu 0xfffe
	s_and_not1_b32 s6, s6, exec_lo
	v_cmp_ge_u64_e32 vcc_lo, v[2:3], v[0:1]
	s_or_not1_b32 s10, vcc_lo, exec_lo
	s_branch .LBB4_33
.LBB4_38:
	v_dual_mov_b32 v67, 0 :: v_dual_and_b32 v68, 0x3ffffe, v17
	v_add_co_u32 v2, vcc_lo, v19, v5
	s_wait_alu 0xfffd
	v_add_co_ci_u32_e64 v3, null, v20, v6, vcc_lo
	s_delay_alu instid0(VALU_DEP_3) | instskip(NEXT) | instid1(VALU_DEP_3)
	v_dual_mov_b32 v69, v67 :: v_dual_mov_b32 v82, 0
	v_add_co_u32 v70, vcc_lo, v2, v66
	v_dual_mov_b32 v83, 0 :: v_dual_and_b32 v2, 31, v31
	v_mov_b32_e32 v5, v67
	s_ashr_i32 s1, s2, 31
	s_ashr_i32 s13, s12, 31
	s_wait_alu 0xfffe
	s_lshr_b32 s1, s1, 29
	v_cmp_eq_u32_e64 s5, 0, v2
	s_wait_alu 0xfffe
	s_add_co_i32 s2, s2, s1
	v_mov_b32_e32 v2, v67
	v_lshlrev_b64_e32 v[84:85], 3, v[4:5]
	s_wait_alu 0xfffe
	s_ashr_i32 s18, s2, 7
	s_lshl_b64 s[2:3], s[12:13], 2
	s_wait_alu 0xfffd
	v_add_co_ci_u32_e64 v71, null, v3, v71, vcc_lo
	s_wait_alu 0xfffe
	v_add_co_u32 v80, vcc_lo, v23, s2
	v_lshlrev_b64_e32 v[19:20], 3, v[25:26]
	s_wait_alu 0xfffd
	v_add_co_ci_u32_e64 v81, null, s3, v24, vcc_lo
	v_add_co_u32 v119, vcc_lo, v11, v84
	s_wait_alu 0xfffd
	v_add_co_ci_u32_e64 v128, null, v12, v85, vcc_lo
	v_add_co_u32 v129, vcc_lo, v9, v84
	;; [unrolled: 3-line block ×3, first 2 shown]
	v_and_b32_e32 v66, 7, v9
	v_cmp_gt_i32_e64 s8, 0, v18
	v_dual_mov_b32 v134, 1 :: v_dual_lshlrev_b32 v9, 3, v17
	v_lshlrev_b64_e32 v[17:18], 4, v[4:5]
	s_wait_alu 0xfffd
	v_add_co_ci_u32_e64 v6, null, v20, v85, vcc_lo
	v_add_co_u32 v5, vcc_lo, v11, v3
	v_and_b32_e32 v131, 0x1fffff0, v9
	s_wait_alu 0xfffd
	s_delay_alu instid0(VALU_DEP_3)
	v_add_co_ci_u32_e64 v6, null, v12, v6, vcc_lo
	v_lshlrev_b64_e32 v[86:87], 3, v[1:2]
	s_wait_loadcnt_dscnt 0x101
	v_add_co_u32 v132, vcc_lo, v48, v17
	v_lshlrev_b64_e32 v[96:97], 4, v[1:2]
	v_mov_b32_e32 v2, 0
	v_cmp_ne_u64_e64 s1, 0, v[54:55]
	s_wait_loadcnt_dscnt 0x0
	v_cmp_ne_u64_e64 s2, 0, v[13:14]
	v_cmp_ne_u64_e64 s6, 0, v[52:53]
	v_lshlrev_b64_e32 v[9:10], 3, v[70:71]
	v_mov_b32_e32 v3, 0
	v_cmp_eq_u64_e64 s7, 0, v[66:67]
	v_cmp_ne_u32_e64 s3, 32, v1
	v_cmp_ne_u32_e64 s4, v1, v0
	v_lshrrev_b32_e32 v118, 5, v1
	s_wait_alu 0xfffd
	v_add_co_ci_u32_e64 v133, null, v49, v18, vcc_lo
	v_mov_b32_e32 v135, 0
	s_cmp_gt_i32 s12, 2
	s_mov_b32 s15, 0
	s_cselect_b32 s19, -1, 0
	s_mov_b32 s13, 0
	s_branch .LBB4_40
.LBB4_39:                               ;   in Loop: Header=BB4_40 Depth=1
	s_wait_alu 0xfffe
	s_or_b32 exec_lo, exec_lo, s9
	v_add_co_u32 v82, vcc_lo, v82, v68
	s_wait_alu 0xfffd
	v_add_co_ci_u32_e64 v83, null, 0, v83, vcc_lo
	v_add_co_u32 v38, vcc_lo, v38, 1
	s_wait_alu 0xfffd
	v_add_co_ci_u32_e64 v39, null, 0, v39, vcc_lo
	s_delay_alu instid0(VALU_DEP_3)
	v_cmp_ge_u64_e32 vcc_lo, v[82:83], v[7:8]
	v_add_co_u32 v5, s9, v5, v131
	s_wait_alu 0xf1ff
	v_add_co_ci_u32_e64 v6, null, 0, v6, s9
	s_or_b32 s13, vcc_lo, s13
	s_wait_alu 0xfffe
	s_and_not1_b32 exec_lo, exec_lo, s13
	s_cbranch_execz .LBB4_205
.LBB4_40:                               ; =>This Loop Header: Depth=1
                                        ;     Child Loop BB4_45 Depth 2
                                        ;     Child Loop BB4_64 Depth 2
	;; [unrolled: 1-line block ×5, first 2 shown]
                                        ;       Child Loop BB4_90 Depth 3
                                        ;       Child Loop BB4_109 Depth 3
	;; [unrolled: 1-line block ×3, first 2 shown]
                                        ;         Child Loop BB4_136 Depth 4
                                        ;       Child Loop BB4_151 Depth 3
                                        ;       Child Loop BB4_126 Depth 3
                                        ;     Child Loop BB4_167 Depth 2
                                        ;       Child Loop BB4_172 Depth 3
                                        ;     Child Loop BB4_193 Depth 2
	s_wait_loadcnt_dscnt 0x0
	flat_load_b32 v19, v[80:81] offset:-4
	v_sub_co_u32 v17, vcc_lo, v7, v82
	s_wait_alu 0xfffd
	v_sub_co_ci_u32_e64 v18, null, v8, v83, vcc_lo
	s_delay_alu instid0(VALU_DEP_1)
	v_cmp_lt_u64_e32 vcc_lo, v[68:69], v[17:18]
	s_wait_alu 0xfffd
	v_cndmask_b32_e32 v144, v17, v68, vcc_lo
	s_and_saveexec_b32 s10, s1
	s_cbranch_execz .LBB4_56
; %bb.41:                               ;   in Loop: Header=BB4_40 Depth=1
	v_add_co_u32 v17, vcc_lo, v15, 1
	s_wait_alu 0xfffd
	v_add_co_ci_u32_e64 v18, null, 0, v16, vcc_lo
	v_add_co_u32 v98, vcc_lo, v64, 8
	s_wait_alu 0xfffd
	v_add_co_ci_u32_e64 v99, null, 0, v65, vcc_lo
	s_mov_b32 s11, exec_lo
	v_cmpx_lt_u64_e64 v[98:99], v[17:18]
	s_cbranch_execz .LBB4_53
; %bb.42:                               ;   in Loop: Header=BB4_40 Depth=1
	s_mov_b32 s14, 0
	s_mov_b32 s23, 0
	v_cmp_eq_u32_e32 vcc_lo, 0, v135
                                        ; implicit-def: $sgpr20
                                        ; implicit-def: $sgpr21
                                        ; implicit-def: $sgpr22
	s_branch .LBB4_45
.LBB4_43:                               ;   in Loop: Header=BB4_45 Depth=2
	s_wait_alu 0xfffe
	s_or_b32 exec_lo, exec_lo, s28
	s_delay_alu instid0(SALU_CYCLE_1)
	s_and_not1_b32 s9, s22, exec_lo
	s_and_b32 s22, s26, exec_lo
	s_and_not1_b32 s21, s21, exec_lo
	s_and_b32 s25, s25, exec_lo
	s_wait_alu 0xfffe
	s_or_b32 s22, s9, s22
	s_or_b32 s21, s21, s25
.LBB4_44:                               ;   in Loop: Header=BB4_45 Depth=2
	s_wait_alu 0xfffe
	s_or_b32 exec_lo, exec_lo, s24
	s_delay_alu instid0(SALU_CYCLE_1)
	s_and_b32 s9, exec_lo, s21
	s_wait_alu 0xfffe
	s_or_b32 s14, s9, s14
	s_and_not1_b32 s9, s20, exec_lo
	s_and_b32 s20, s22, exec_lo
	s_wait_alu 0xfffe
	s_or_b32 s20, s9, s20
	s_and_not1_b32 exec_lo, exec_lo, s14
	s_cbranch_execz .LBB4_50
.LBB4_45:                               ;   Parent Loop BB4_40 Depth=1
                                        ; =>  This Inner Loop Header: Depth=2
	s_sleep 1
	s_wait_loadcnt_dscnt 0x0
	flat_load_b64 v[64:65], v[54:55] scope:SCOPE_DEV
	v_mov_b32_e32 v135, 1
	s_or_b32 s22, s22, exec_lo
	s_or_b32 s21, s21, exec_lo
                                        ; implicit-def: $vgpr16
	s_and_saveexec_b32 s24, vcc_lo
	s_cbranch_execz .LBB4_44
; %bb.46:                               ;   in Loop: Header=BB4_45 Depth=2
	s_wait_alu 0xfffe
	s_add_co_i32 s23, s23, 1
	s_mov_b32 s25, -1
	s_wait_alu 0xfffe
	s_cmp_lg_u32 s23, 0x2710
	s_mov_b32 s26, -1
	s_cselect_b32 s27, -1, 0
	s_cmp_eq_u32 s23, 0x2710
                                        ; implicit-def: $vgpr16
	s_cbranch_scc1 .LBB4_48
; %bb.47:                               ;   in Loop: Header=BB4_45 Depth=2
	v_mov_b32_e32 v135, 1
	s_wait_alu 0xfffe
	s_and_saveexec_b32 s28, s27
	s_cbranch_execz .LBB4_43
	s_branch .LBB4_49
.LBB4_48:                               ;   in Loop: Header=BB4_45 Depth=2
	s_trap 2
	ds_load_b64 v[98:99], v0
	s_wait_alu 0xfffe
	s_and_not1_b32 s23, s27, exec_lo
	s_mov_b32 s26, 0
	s_wait_storecnt 0x0
	s_wait_loadcnt_dscnt 0x0
	flat_load_b32 v16, v[98:99] scope:SCOPE_SYS
	s_wait_loadcnt_dscnt 0x0
	global_inv scope:SCOPE_SYS
	v_cmp_eq_u32_e64 s9, 0, v16
	s_and_b32 s9, s9, exec_lo
	s_wait_alu 0xfffe
	s_or_b32 s27, s23, s9
	s_mov_b32 s23, 0
	v_mov_b32_e32 v135, 1
	s_wait_alu 0xfffe
	s_and_saveexec_b32 s28, s27
	s_cbranch_execz .LBB4_43
.LBB4_49:                               ;   in Loop: Header=BB4_45 Depth=2
	s_wait_loadcnt_dscnt 0x0
	v_add_co_u32 v98, s9, v64, 8
	s_wait_alu 0xf1ff
	v_add_co_ci_u32_e64 v99, null, 0, v65, s9
	v_mov_b32_e32 v135, 0
	s_or_b32 s26, s26, exec_lo
	s_delay_alu instid0(VALU_DEP_2)
	v_cmp_ge_u64_e64 s9, v[98:99], v[17:18]
	s_or_not1_b32 s25, s9, exec_lo
	s_branch .LBB4_43
.LBB4_50:                               ;   in Loop: Header=BB4_40 Depth=1
	s_or_b32 exec_lo, exec_lo, s14
	s_wait_alu 0xfffe
	s_xor_b32 s9, s20, -1
	s_wait_alu 0xfffe
	s_and_saveexec_b32 s14, s9
	s_wait_alu 0xfffe
	s_xor_b32 s9, exec_lo, s14
	s_cbranch_execz .LBB4_52
; %bb.51:                               ;   in Loop: Header=BB4_40 Depth=1
	v_mov_b32_e32 v135, 1
	s_wait_storecnt 0x0
	s_wait_loadcnt_dscnt 0x0
	ds_store_b32 v0, v16
	s_trap 2
.LBB4_52:                               ;   in Loop: Header=BB4_40 Depth=1
	s_wait_alu 0xfffe
	s_or_b32 exec_lo, exec_lo, s9
.LBB4_53:                               ;   in Loop: Header=BB4_40 Depth=1
	s_wait_alu 0xfffe
	s_or_b32 exec_lo, exec_lo, s11
	s_and_saveexec_b32 s9, s2
	s_cbranch_execz .LBB4_55
; %bb.54:                               ;   in Loop: Header=BB4_40 Depth=1
	v_and_b32_e32 v66, 0x7ffffff8, v15
	v_and_b32_e32 v20, 7, v15
	s_delay_alu instid0(VALU_DEP_2) | instskip(NEXT) | instid1(VALU_DEP_2)
	v_cmp_eq_u64_e32 vcc_lo, 0x7ffffff8, v[66:67]
	v_mad_co_u64_u32 v[98:99], null, v20, 24, v[13:14]
	s_wait_alu 0xfffd
	v_cndmask_b32_e64 v16, v144, s18, vcc_lo
	s_delay_alu instid0(VALU_DEP_1) | instskip(NEXT) | instid1(VALU_DEP_1)
	v_lshlrev_b32_e32 v15, 4, v16
	v_ashrrev_i32_e32 v16, 31, v15
	s_wait_loadcnt 0x0
	s_wait_storecnt 0x0
	flat_store_b64 v[98:99], v[15:16] offset:8 scope:SCOPE_SYS
	s_wait_storecnt 0x0
.LBB4_55:                               ;   in Loop: Header=BB4_40 Depth=1
	s_wait_alu 0xfffe
	s_or_b32 exec_lo, exec_lo, s9
	v_dual_mov_b32 v15, v17 :: v_dual_mov_b32 v16, v18
.LBB4_56:                               ;   in Loop: Header=BB4_40 Depth=1
	s_wait_alu 0xfffe
	s_or_b32 exec_lo, exec_lo, s10
	s_and_saveexec_b32 s9, s3
	s_cbranch_execz .LBB4_75
; %bb.57:                               ;   in Loop: Header=BB4_40 Depth=1
	s_and_saveexec_b32 s10, s4
	s_wait_alu 0xfffe
	s_xor_b32 s10, exec_lo, s10
	s_cbranch_execz .LBB4_72
; %bb.58:                               ;   in Loop: Header=BB4_40 Depth=1
	s_and_saveexec_b32 s11, s5
	s_cbranch_execz .LBB4_71
; %bb.59:                               ;   in Loop: Header=BB4_40 Depth=1
	s_mov_b32 s20, exec_lo
	s_mov_b32 s14, exec_lo
	s_wait_alu 0xfffe
	v_mbcnt_lo_u32_b32 v17, s20, 0
	s_wait_storecnt 0x0
	s_wait_loadcnt_dscnt 0x0
	global_inv scope:SCOPE_DEV
	v_cmpx_eq_u32_e32 0, v17
	s_cbranch_execz .LBB4_61
; %bb.60:                               ;   in Loop: Header=BB4_40 Depth=1
	s_bcnt1_i32_b32 s20, s20
	s_wait_alu 0xfffe
	v_mov_b32_e32 v66, s20
	s_wait_loadcnt 0x0
	ds_add_u64 v0, v[66:67]
	s_trap 2
.LBB4_61:                               ;   in Loop: Header=BB4_40 Depth=1
	s_or_b32 exec_lo, exec_lo, s14
	s_trap 2
	ds_load_b64 v[17:18], v0
	s_wait_dscnt 0x0
	global_inv scope:SCOPE_SE
	v_add_co_u32 v2, vcc_lo, v2, v118
	s_wait_alu 0xfffd
	v_add_co_ci_u32_e64 v3, null, 0, v3, vcc_lo
	s_mov_b32 s14, exec_lo
	v_cmpx_lt_u64_e64 v[17:18], v[2:3]
	s_cbranch_execz .LBB4_70
; %bb.62:                               ;   in Loop: Header=BB4_40 Depth=1
	s_mov_b32 s20, 0
	s_mov_b32 s23, 0
                                        ; implicit-def: $sgpr21
                                        ; implicit-def: $sgpr22
	s_branch .LBB4_64
.LBB4_63:                               ;   in Loop: Header=BB4_64 Depth=2
	s_wait_alu 0xfffe
	s_or_b32 exec_lo, exec_lo, s25
	s_delay_alu instid0(SALU_CYCLE_1)
	s_and_b32 s24, exec_lo, s26
	s_wait_alu 0xfffe
	s_or_b32 s20, s24, s20
	s_and_not1_b32 s21, s21, exec_lo
	s_and_b32 s24, s22, exec_lo
	s_wait_alu 0xfffe
	s_or_b32 s21, s21, s24
	s_and_not1_b32 exec_lo, exec_lo, s20
	s_cbranch_execz .LBB4_68
.LBB4_64:                               ;   Parent Loop BB4_40 Depth=1
                                        ; =>  This Inner Loop Header: Depth=2
	s_wait_alu 0xfffe
	s_add_co_i32 s23, s23, 1
	s_wait_alu 0xfffe
	s_cmp_lg_u32 s23, 0x2710
	s_cselect_b32 s24, -1, 0
	s_wait_alu 0xfffe
	s_and_b32 vcc_lo, exec_lo, s24
	s_wait_alu 0xfffe
	s_cbranch_vccz .LBB4_66
; %bb.65:                               ;   in Loop: Header=BB4_64 Depth=2
	s_mov_b32 s26, -1
	s_or_b32 s22, s22, exec_lo
	s_and_saveexec_b32 s25, s24
	s_cbranch_execz .LBB4_63
	s_branch .LBB4_67
.LBB4_66:                               ;   in Loop: Header=BB4_64 Depth=2
	s_trap 2
	ds_load_b64 v[17:18], v0
	s_and_not1_b32 s24, s24, exec_lo
	s_mov_b32 s23, 0
	s_wait_loadcnt_dscnt 0x0
	flat_load_b32 v17, v[17:18] scope:SCOPE_SYS
	s_wait_loadcnt_dscnt 0x0
	global_inv scope:SCOPE_SYS
	v_cmp_eq_u32_e32 vcc_lo, 0, v17
	s_and_b32 s25, vcc_lo, exec_lo
	s_wait_alu 0xfffe
	s_or_b32 s24, s24, s25
	s_mov_b32 s26, -1
	s_or_b32 s22, s22, exec_lo
	s_wait_alu 0xfffe
	s_and_saveexec_b32 s25, s24
	s_cbranch_execz .LBB4_63
.LBB4_67:                               ;   in Loop: Header=BB4_64 Depth=2
	s_sleep 1
	s_trap 2
	ds_load_b64 v[17:18], v0
	s_wait_dscnt 0x0
	global_inv scope:SCOPE_SE
	s_wait_alu 0xfffe
	s_and_not1_b32 s22, s22, exec_lo
	v_cmp_ge_u64_e32 vcc_lo, v[17:18], v[2:3]
	s_or_not1_b32 s26, vcc_lo, exec_lo
	s_branch .LBB4_63
.LBB4_68:                               ;   in Loop: Header=BB4_40 Depth=1
	s_or_b32 exec_lo, exec_lo, s20
	s_wait_alu 0xfffe
	s_and_saveexec_b32 s20, s21
	s_wait_alu 0xfffe
	s_xor_b32 s20, exec_lo, s20
	s_cbranch_execz .LBB4_70
; %bb.69:                               ;   in Loop: Header=BB4_40 Depth=1
	ds_store_b32 v0, v134
	s_trap 2
.LBB4_70:                               ;   in Loop: Header=BB4_40 Depth=1
	s_wait_alu 0xfffe
	s_or_b32 exec_lo, exec_lo, s14
	;;#ASMSTART
	s_wakeup
	;;#ASMEND
.LBB4_71:                               ;   in Loop: Header=BB4_40 Depth=1
	s_wait_alu 0xfffe
	s_or_b32 exec_lo, exec_lo, s11
.LBB4_72:                               ;   in Loop: Header=BB4_40 Depth=1
	s_wait_alu 0xfffe
	s_and_not1_saveexec_b32 s10, s10
	s_cbranch_execz .LBB4_74
; %bb.73:                               ;   in Loop: Header=BB4_40 Depth=1
	s_wait_storecnt 0x0
	s_wait_loadcnt_dscnt 0x0
	global_inv scope:SCOPE_DEV
	s_barrier_signal -1
	s_barrier_wait -1
.LBB4_74:                               ;   in Loop: Header=BB4_40 Depth=1
	s_wait_alu 0xfffe
	s_or_b32 exec_lo, exec_lo, s10
.LBB4_75:                               ;   in Loop: Header=BB4_40 Depth=1
	s_wait_alu 0xfffe
	s_or_b32 exec_lo, exec_lo, s9
	v_sub_nc_u32_e32 v145, v144, v4
	v_dual_mov_b32 v98, v4 :: v_dual_and_b32 v103, 7, v21
	v_add_nc_u32_e32 v18, 1, v21
	s_delay_alu instid0(VALU_DEP_3)
	v_cmp_lt_i32_e64 s9, 0, v145
	s_and_saveexec_b32 s11, s9
	s_cbranch_execz .LBB4_79
; %bb.76:                               ;   in Loop: Header=BB4_40 Depth=1
	v_mul_lo_u32 v101, v103, s18
	s_wait_loadcnt_dscnt 0x0
	v_ashrrev_i32_e32 v17, 31, v19
	v_mad_co_u64_u32 v[99:100], null, v9, v19, v[5:6]
	v_mul_lo_u32 v98, v10, v19
	v_mov_b32_e32 v66, v145
	s_delay_alu instid0(VALU_DEP_4) | instskip(SKIP_2) | instid1(VALU_DEP_1)
	v_mul_lo_u32 v17, v9, v17
	s_mov_b32 s14, 0
	v_ashrrev_i32_e32 v102, 31, v101
	v_lshlrev_b64_e32 v[19:20], 4, v[101:102]
	s_delay_alu instid0(VALU_DEP_3) | instskip(SKIP_1) | instid1(VALU_DEP_3)
	v_add3_u32 v100, v98, v100, v17
	v_mov_b32_e32 v98, v4
	v_add_co_u32 v101, vcc_lo, v132, v19
	s_wait_alu 0xfffd
	s_delay_alu instid0(VALU_DEP_4)
	v_add_co_ci_u32_e64 v102, null, v133, v20, vcc_lo
.LBB4_77:                               ;   Parent Loop BB4_40 Depth=1
                                        ; =>  This Inner Loop Header: Depth=2
	global_load_b64 v[112:113], v[99:100], off th:TH_LOAD_NT
	v_mov_b32_e32 v20, v18
	v_sub_nc_u32_e32 v66, v66, v1
	v_add_nc_u32_e32 v98, v98, v1
	v_add_co_u32 v99, vcc_lo, v99, v86
	s_wait_alu 0xfffd
	v_add_co_ci_u32_e64 v100, null, v100, v87, vcc_lo
	v_cmp_gt_i32_e32 vcc_lo, 1, v66
	s_wait_alu 0xfffe
	s_or_b32 s14, vcc_lo, s14
	s_wait_loadcnt 0x0
	v_mov_b32_e32 v17, v112
	v_mov_b32_e32 v19, v113
	global_store_b128 v[101:102], v[17:20], off
	v_add_co_u32 v101, s10, v101, v96
	s_wait_alu 0xf1ff
	v_add_co_ci_u32_e64 v102, null, v102, v97, s10
	s_wait_alu 0xfffe
	s_and_not1_b32 exec_lo, exec_lo, s14
	s_cbranch_execnz .LBB4_77
; %bb.78:                               ;   in Loop: Header=BB4_40 Depth=1
	s_or_b32 exec_lo, exec_lo, s14
.LBB4_79:                               ;   in Loop: Header=BB4_40 Depth=1
	s_wait_alu 0xfffe
	s_or_b32 exec_lo, exec_lo, s11
	v_and_b32_e32 v66, 0x7ffffff8, v21
	v_cmp_gt_i32_e64 s10, s18, v98
	s_delay_alu instid0(VALU_DEP_2)
	v_cmp_eq_u64_e32 vcc_lo, 0x7ffffff8, v[66:67]
	s_and_b32 s10, vcc_lo, s10
	s_wait_alu 0xfffe
	s_and_saveexec_b32 s11, s10
	s_cbranch_execz .LBB4_82
; %bb.80:                               ;   in Loop: Header=BB4_40 Depth=1
	s_wait_loadcnt_dscnt 0x0
	v_mul_lo_u32 v19, v103, s18
	v_ashrrev_i32_e32 v99, 31, v98
	v_mov_b32_e32 v17, v67
	s_mov_b32 s14, 0
	s_delay_alu instid0(VALU_DEP_2) | instskip(NEXT) | instid1(VALU_DEP_4)
	v_lshlrev_b64_e32 v[99:100], 4, v[98:99]
	v_ashrrev_i32_e32 v20, 31, v19
	s_delay_alu instid0(VALU_DEP_1) | instskip(NEXT) | instid1(VALU_DEP_1)
	v_lshlrev_b64_e32 v[19:20], 4, v[19:20]
	v_add_co_u32 v19, vcc_lo, v99, v19
	s_wait_alu 0xfffd
	s_delay_alu instid0(VALU_DEP_2) | instskip(NEXT) | instid1(VALU_DEP_2)
	v_add_co_ci_u32_e64 v20, null, v100, v20, vcc_lo
	v_add_co_u32 v99, vcc_lo, v48, v19
	s_wait_alu 0xfffd
	s_delay_alu instid0(VALU_DEP_2)
	v_add_co_ci_u32_e64 v100, null, v49, v20, vcc_lo
.LBB4_81:                               ;   Parent Loop BB4_40 Depth=1
                                        ; =>  This Inner Loop Header: Depth=2
	v_dual_mov_b32 v19, v17 :: v_dual_add_nc_u32 v98, v98, v1
	v_mov_b32_e32 v20, v18
	s_delay_alu instid0(VALU_DEP_2)
	v_cmp_le_i32_e32 vcc_lo, s18, v98
	global_store_b128 v[99:100], v[17:20], off
	v_add_co_u32 v99, s10, v99, v96
	s_wait_alu 0xf1ff
	v_add_co_ci_u32_e64 v100, null, v100, v97, s10
	s_wait_alu 0xfffe
	s_or_b32 s14, vcc_lo, s14
	s_wait_alu 0xfffe
	s_and_not1_b32 exec_lo, exec_lo, s14
	s_cbranch_execnz .LBB4_81
.LBB4_82:                               ;   in Loop: Header=BB4_40 Depth=1
	s_wait_alu 0xfffe
	s_or_b32 exec_lo, exec_lo, s11
	v_add_co_u32 v17, vcc_lo, v82, v25
	s_wait_alu 0xfffd
	v_add_co_ci_u32_e64 v18, null, v83, v26, vcc_lo
	v_add_co_u32 v100, vcc_lo, v21, 1
	s_wait_alu 0xfffd
	v_add_co_ci_u32_e64 v101, null, 0, v22, vcc_lo
	s_delay_alu instid0(VALU_DEP_3)
	v_lshlrev_b64_e32 v[98:99], 3, v[17:18]
	s_and_not1_b32 vcc_lo, exec_lo, s19
	s_wait_alu 0xfffe
	s_cbranch_vccnz .LBB4_162
; %bb.83:                               ;   in Loop: Header=BB4_40 Depth=1
	s_delay_alu instid0(VALU_DEP_1)
	v_add_co_u32 v146, vcc_lo, v119, v98
	s_wait_alu 0xfffd
	v_add_co_ci_u32_e64 v147, null, v128, v99, vcc_lo
	v_add_nc_u16 v148, v21, 1
	s_mov_b32 s20, 2
	s_branch .LBB4_85
.LBB4_84:                               ;   in Loop: Header=BB4_85 Depth=2
	s_wait_alu 0xfffe
	s_or_b32 exec_lo, exec_lo, s11
	v_add_co_u32 v38, vcc_lo, v38, 1
	s_wait_alu 0xfffd
	v_add_co_ci_u32_e64 v39, null, 0, v39, vcc_lo
	v_add_co_u32 v100, vcc_lo, v100, 1
	s_wait_alu 0xfffd
	v_add_co_ci_u32_e64 v101, null, 0, v101, vcc_lo
	v_add_nc_u16 v148, v148, 1
	s_add_co_i32 s20, s20, 1
	s_wait_alu 0xfffe
	s_cmp_eq_u32 s20, s12
	s_cbranch_scc1 .LBB4_162
.LBB4_85:                               ;   Parent Loop BB4_40 Depth=1
                                        ; =>  This Loop Header: Depth=2
                                        ;       Child Loop BB4_90 Depth 3
                                        ;       Child Loop BB4_109 Depth 3
                                        ;       Child Loop BB4_131 Depth 3
                                        ;         Child Loop BB4_136 Depth 4
                                        ;       Child Loop BB4_151 Depth 3
                                        ;       Child Loop BB4_126 Depth 3
	s_wait_alu 0xfffe
	s_sub_co_i32 s14, s12, s20
	s_wait_alu 0xfffe
	s_lshl_b64 s[10:11], s[14:15], 2
	s_wait_alu 0xfffe
	v_add_co_u32 v17, vcc_lo, v23, s10
	s_wait_alu 0xfffd
	v_add_co_ci_u32_e64 v18, null, s11, v24, vcc_lo
	s_wait_loadcnt_dscnt 0x0
	flat_load_b32 v19, v[17:18]
	s_and_saveexec_b32 s11, s1
	s_cbranch_execz .LBB4_101
; %bb.86:                               ;   in Loop: Header=BB4_85 Depth=2
	v_add_co_u32 v17, vcc_lo, v15, 1
	s_wait_alu 0xfffd
	v_add_co_ci_u32_e64 v18, null, 0, v16, vcc_lo
	v_add_co_u32 v20, vcc_lo, v64, 8
	s_wait_alu 0xfffd
	v_add_co_ci_u32_e64 v21, null, 0, v65, vcc_lo
	s_mov_b32 s14, exec_lo
	v_cmpx_lt_u64_e64 v[20:21], v[17:18]
	s_cbranch_execz .LBB4_98
; %bb.87:                               ;   in Loop: Header=BB4_85 Depth=2
	s_mov_b32 s21, 0
	s_mov_b32 s25, 0
	v_cmp_eq_u32_e32 vcc_lo, 0, v135
                                        ; implicit-def: $sgpr22
                                        ; implicit-def: $sgpr23
                                        ; implicit-def: $sgpr24
	s_branch .LBB4_90
.LBB4_88:                               ;   in Loop: Header=BB4_90 Depth=3
	s_wait_alu 0xfffe
	s_or_b32 exec_lo, exec_lo, s40
	s_delay_alu instid0(SALU_CYCLE_1)
	s_and_not1_b32 s10, s24, exec_lo
	s_and_b32 s24, s28, exec_lo
	s_and_not1_b32 s23, s23, exec_lo
	s_and_b32 s27, s27, exec_lo
	s_wait_alu 0xfffe
	s_or_b32 s24, s10, s24
	s_or_b32 s23, s23, s27
.LBB4_89:                               ;   in Loop: Header=BB4_90 Depth=3
	s_wait_alu 0xfffe
	s_or_b32 exec_lo, exec_lo, s26
	s_delay_alu instid0(SALU_CYCLE_1)
	s_and_b32 s10, exec_lo, s23
	s_wait_alu 0xfffe
	s_or_b32 s21, s10, s21
	s_and_not1_b32 s10, s22, exec_lo
	s_and_b32 s22, s24, exec_lo
	s_wait_alu 0xfffe
	s_or_b32 s22, s10, s22
	s_and_not1_b32 exec_lo, exec_lo, s21
	s_cbranch_execz .LBB4_95
.LBB4_90:                               ;   Parent Loop BB4_40 Depth=1
                                        ;     Parent Loop BB4_85 Depth=2
                                        ; =>    This Inner Loop Header: Depth=3
	s_sleep 1
	s_wait_loadcnt_dscnt 0x0
	flat_load_b64 v[64:65], v[54:55] scope:SCOPE_DEV
	v_mov_b32_e32 v135, 1
	s_or_b32 s24, s24, exec_lo
	s_or_b32 s23, s23, exec_lo
                                        ; implicit-def: $vgpr16
	s_and_saveexec_b32 s26, vcc_lo
	s_cbranch_execz .LBB4_89
; %bb.91:                               ;   in Loop: Header=BB4_90 Depth=3
	s_wait_alu 0xfffe
	s_add_co_i32 s25, s25, 1
	s_mov_b32 s27, -1
	s_wait_alu 0xfffe
	s_cmp_lg_u32 s25, 0x2710
	s_mov_b32 s28, -1
	s_cselect_b32 s29, -1, 0
	s_cmp_eq_u32 s25, 0x2710
                                        ; implicit-def: $vgpr16
	s_cbranch_scc1 .LBB4_93
; %bb.92:                               ;   in Loop: Header=BB4_90 Depth=3
	v_mov_b32_e32 v135, 1
	s_wait_alu 0xfffe
	s_and_saveexec_b32 s40, s29
	s_cbranch_execz .LBB4_88
	s_branch .LBB4_94
.LBB4_93:                               ;   in Loop: Header=BB4_90 Depth=3
	s_trap 2
	ds_load_b64 v[20:21], v0
	s_wait_alu 0xfffe
	s_and_not1_b32 s25, s29, exec_lo
	s_mov_b32 s28, 0
	s_wait_storecnt 0x0
	s_wait_loadcnt_dscnt 0x0
	flat_load_b32 v16, v[20:21] scope:SCOPE_SYS
	s_wait_loadcnt_dscnt 0x0
	global_inv scope:SCOPE_SYS
	v_cmp_eq_u32_e64 s10, 0, v16
	s_and_b32 s10, s10, exec_lo
	s_wait_alu 0xfffe
	s_or_b32 s29, s25, s10
	s_mov_b32 s25, 0
	v_mov_b32_e32 v135, 1
	s_wait_alu 0xfffe
	s_and_saveexec_b32 s40, s29
	s_cbranch_execz .LBB4_88
.LBB4_94:                               ;   in Loop: Header=BB4_90 Depth=3
	s_wait_loadcnt_dscnt 0x0
	v_add_co_u32 v20, s10, v64, 8
	s_wait_alu 0xf1ff
	v_add_co_ci_u32_e64 v21, null, 0, v65, s10
	v_mov_b32_e32 v135, 0
	s_or_b32 s28, s28, exec_lo
	s_delay_alu instid0(VALU_DEP_2)
	v_cmp_ge_u64_e64 s10, v[20:21], v[17:18]
	s_or_not1_b32 s27, s10, exec_lo
	s_branch .LBB4_88
.LBB4_95:                               ;   in Loop: Header=BB4_85 Depth=2
	s_or_b32 exec_lo, exec_lo, s21
	s_wait_alu 0xfffe
	s_xor_b32 s10, s22, -1
	s_wait_alu 0xfffe
	s_and_saveexec_b32 s21, s10
	s_wait_alu 0xfffe
	s_xor_b32 s10, exec_lo, s21
	s_cbranch_execz .LBB4_97
; %bb.96:                               ;   in Loop: Header=BB4_85 Depth=2
	v_mov_b32_e32 v135, 1
	s_wait_storecnt 0x0
	s_wait_loadcnt_dscnt 0x0
	ds_store_b32 v0, v16
	s_trap 2
.LBB4_97:                               ;   in Loop: Header=BB4_85 Depth=2
	s_wait_alu 0xfffe
	s_or_b32 exec_lo, exec_lo, s10
.LBB4_98:                               ;   in Loop: Header=BB4_85 Depth=2
	s_wait_alu 0xfffe
	s_or_b32 exec_lo, exec_lo, s14
	s_and_saveexec_b32 s10, s2
	s_cbranch_execz .LBB4_100
; %bb.99:                               ;   in Loop: Header=BB4_85 Depth=2
	v_and_b32_e32 v66, 0x7ffffff8, v15
	v_and_b32_e32 v20, 7, v15
	s_delay_alu instid0(VALU_DEP_2) | instskip(NEXT) | instid1(VALU_DEP_2)
	v_cmp_eq_u64_e32 vcc_lo, 0x7ffffff8, v[66:67]
	v_mad_co_u64_u32 v[20:21], null, v20, 24, v[13:14]
	s_wait_alu 0xfffd
	v_cndmask_b32_e64 v16, v144, s18, vcc_lo
	s_delay_alu instid0(VALU_DEP_1) | instskip(NEXT) | instid1(VALU_DEP_1)
	v_lshlrev_b32_e32 v15, 4, v16
	v_ashrrev_i32_e32 v16, 31, v15
	s_wait_loadcnt 0x0
	s_wait_storecnt 0x0
	flat_store_b64 v[20:21], v[15:16] offset:8 scope:SCOPE_SYS
	s_wait_storecnt 0x0
.LBB4_100:                              ;   in Loop: Header=BB4_85 Depth=2
	s_wait_alu 0xfffe
	s_or_b32 exec_lo, exec_lo, s10
	v_dual_mov_b32 v15, v17 :: v_dual_mov_b32 v16, v18
.LBB4_101:                              ;   in Loop: Header=BB4_85 Depth=2
	s_wait_alu 0xfffe
	s_or_b32 exec_lo, exec_lo, s11
	s_and_saveexec_b32 s10, s3
	s_cbranch_execz .LBB4_120
; %bb.102:                              ;   in Loop: Header=BB4_85 Depth=2
	s_and_saveexec_b32 s11, s4
	s_wait_alu 0xfffe
	s_xor_b32 s11, exec_lo, s11
	s_cbranch_execz .LBB4_117
; %bb.103:                              ;   in Loop: Header=BB4_85 Depth=2
	s_and_saveexec_b32 s14, s5
	s_cbranch_execz .LBB4_116
; %bb.104:                              ;   in Loop: Header=BB4_85 Depth=2
	s_mov_b32 s22, exec_lo
	s_mov_b32 s21, exec_lo
	s_wait_alu 0xfffe
	v_mbcnt_lo_u32_b32 v17, s22, 0
	s_wait_storecnt 0x0
	s_wait_loadcnt_dscnt 0x0
	global_inv scope:SCOPE_DEV
	v_cmpx_eq_u32_e32 0, v17
	s_cbranch_execz .LBB4_106
; %bb.105:                              ;   in Loop: Header=BB4_85 Depth=2
	s_bcnt1_i32_b32 s22, s22
	s_wait_alu 0xfffe
	v_mov_b32_e32 v66, s22
	s_wait_loadcnt 0x0
	ds_add_u64 v0, v[66:67]
	s_trap 2
.LBB4_106:                              ;   in Loop: Header=BB4_85 Depth=2
	s_or_b32 exec_lo, exec_lo, s21
	s_trap 2
	ds_load_b64 v[17:18], v0
	s_wait_dscnt 0x0
	global_inv scope:SCOPE_SE
	v_add_co_u32 v2, vcc_lo, v2, v118
	s_wait_alu 0xfffd
	v_add_co_ci_u32_e64 v3, null, 0, v3, vcc_lo
	s_mov_b32 s21, exec_lo
	v_cmpx_lt_u64_e64 v[17:18], v[2:3]
	s_cbranch_execz .LBB4_115
; %bb.107:                              ;   in Loop: Header=BB4_85 Depth=2
	s_mov_b32 s22, 0
	s_mov_b32 s25, 0
                                        ; implicit-def: $sgpr23
                                        ; implicit-def: $sgpr24
	s_branch .LBB4_109
.LBB4_108:                              ;   in Loop: Header=BB4_109 Depth=3
	s_wait_alu 0xfffe
	s_or_b32 exec_lo, exec_lo, s27
	s_delay_alu instid0(SALU_CYCLE_1)
	s_and_b32 s26, exec_lo, s28
	s_wait_alu 0xfffe
	s_or_b32 s22, s26, s22
	s_and_not1_b32 s23, s23, exec_lo
	s_and_b32 s26, s24, exec_lo
	s_wait_alu 0xfffe
	s_or_b32 s23, s23, s26
	s_and_not1_b32 exec_lo, exec_lo, s22
	s_cbranch_execz .LBB4_113
.LBB4_109:                              ;   Parent Loop BB4_40 Depth=1
                                        ;     Parent Loop BB4_85 Depth=2
                                        ; =>    This Inner Loop Header: Depth=3
	s_wait_alu 0xfffe
	s_add_co_i32 s25, s25, 1
	s_wait_alu 0xfffe
	s_cmp_lg_u32 s25, 0x2710
	s_cselect_b32 s26, -1, 0
	s_wait_alu 0xfffe
	s_and_b32 vcc_lo, exec_lo, s26
	s_wait_alu 0xfffe
	s_cbranch_vccz .LBB4_111
; %bb.110:                              ;   in Loop: Header=BB4_109 Depth=3
	s_mov_b32 s28, -1
	s_or_b32 s24, s24, exec_lo
	s_and_saveexec_b32 s27, s26
	s_cbranch_execz .LBB4_108
	s_branch .LBB4_112
.LBB4_111:                              ;   in Loop: Header=BB4_109 Depth=3
	s_trap 2
	ds_load_b64 v[17:18], v0
	s_and_not1_b32 s26, s26, exec_lo
	s_mov_b32 s25, 0
	s_wait_loadcnt_dscnt 0x0
	flat_load_b32 v17, v[17:18] scope:SCOPE_SYS
	s_wait_loadcnt_dscnt 0x0
	global_inv scope:SCOPE_SYS
	v_cmp_eq_u32_e32 vcc_lo, 0, v17
	s_and_b32 s27, vcc_lo, exec_lo
	s_wait_alu 0xfffe
	s_or_b32 s26, s26, s27
	s_mov_b32 s28, -1
	s_or_b32 s24, s24, exec_lo
	s_wait_alu 0xfffe
	s_and_saveexec_b32 s27, s26
	s_cbranch_execz .LBB4_108
.LBB4_112:                              ;   in Loop: Header=BB4_109 Depth=3
	s_sleep 1
	s_trap 2
	ds_load_b64 v[17:18], v0
	s_wait_dscnt 0x0
	global_inv scope:SCOPE_SE
	s_wait_alu 0xfffe
	s_and_not1_b32 s24, s24, exec_lo
	v_cmp_ge_u64_e32 vcc_lo, v[17:18], v[2:3]
	s_or_not1_b32 s28, vcc_lo, exec_lo
	s_branch .LBB4_108
.LBB4_113:                              ;   in Loop: Header=BB4_85 Depth=2
	s_or_b32 exec_lo, exec_lo, s22
	s_wait_alu 0xfffe
	s_and_saveexec_b32 s22, s23
	s_wait_alu 0xfffe
	s_xor_b32 s22, exec_lo, s22
	s_cbranch_execz .LBB4_115
; %bb.114:                              ;   in Loop: Header=BB4_85 Depth=2
	ds_store_b32 v0, v134
	s_trap 2
.LBB4_115:                              ;   in Loop: Header=BB4_85 Depth=2
	s_wait_alu 0xfffe
	s_or_b32 exec_lo, exec_lo, s21
	;;#ASMSTART
	s_wakeup
	;;#ASMEND
.LBB4_116:                              ;   in Loop: Header=BB4_85 Depth=2
	s_wait_alu 0xfffe
	s_or_b32 exec_lo, exec_lo, s14
.LBB4_117:                              ;   in Loop: Header=BB4_85 Depth=2
	s_wait_alu 0xfffe
	s_and_not1_saveexec_b32 s11, s11
	s_cbranch_execz .LBB4_119
; %bb.118:                              ;   in Loop: Header=BB4_85 Depth=2
	s_wait_storecnt 0x0
	s_wait_loadcnt_dscnt 0x0
	global_inv scope:SCOPE_DEV
	s_barrier_signal -1
	s_barrier_wait -1
.LBB4_119:                              ;   in Loop: Header=BB4_85 Depth=2
	s_wait_alu 0xfffe
	s_or_b32 exec_lo, exec_lo, s11
.LBB4_120:                              ;   in Loop: Header=BB4_85 Depth=2
	s_wait_alu 0xfffe
	s_or_b32 exec_lo, exec_lo, s10
	v_add_nc_u32_e32 v18, 1, v100
	v_mov_b32_e32 v66, v4
	s_and_saveexec_b32 s14, s9
	s_cbranch_execnz .LBB4_127
; %bb.121:                              ;   in Loop: Header=BB4_85 Depth=2
	s_wait_alu 0xfffe
	s_or_b32 exec_lo, exec_lo, s14
	s_and_saveexec_b32 s10, s3
	s_cbranch_execnz .LBB4_144
.LBB4_122:                              ;   in Loop: Header=BB4_85 Depth=2
	s_wait_alu 0xfffe
	s_or_b32 exec_lo, exec_lo, s10
	s_and_saveexec_b32 s10, s6
	s_cbranch_execz .LBB4_124
.LBB4_123:                              ;   in Loop: Header=BB4_85 Depth=2
	v_add_co_u32 v50, vcc_lo, v50, 1
	s_wait_alu 0xfffd
	v_add_co_ci_u32_e64 v51, null, 0, v51, vcc_lo
	global_wb scope:SCOPE_SYS
	s_wait_storecnt 0x0
	s_wait_loadcnt_dscnt 0x0
	flat_store_b64 v[52:53], v[50:51] scope:SCOPE_SYS
.LBB4_124:                              ;   in Loop: Header=BB4_85 Depth=2
	s_wait_alu 0xfffe
	s_or_b32 exec_lo, exec_lo, s10
	s_wait_loadcnt_dscnt 0x0
	v_dual_mov_b32 v20, v67 :: v_dual_and_b32 v19, 0x7ffffff8, v100
	v_cmp_gt_i32_e64 s10, s18, v66
	s_delay_alu instid0(VALU_DEP_2)
	v_cmp_eq_u64_e32 vcc_lo, 0x7ffffff8, v[19:20]
	s_and_b32 s10, vcc_lo, s10
	s_wait_alu 0xfffe
	s_and_saveexec_b32 s11, s10
	s_cbranch_execz .LBB4_84
; %bb.125:                              ;   in Loop: Header=BB4_85 Depth=2
	v_and_b32_e32 v17, 7, v148
	v_ashrrev_i32_e32 v22, 31, v66
	v_mov_b32_e32 v21, v66
	s_mov_b32 s14, 0
	s_delay_alu instid0(VALU_DEP_3) | instskip(SKIP_1) | instid1(VALU_DEP_3)
	v_mul_lo_u32 v19, s18, v17
	v_mov_b32_e32 v17, v67
	v_lshlrev_b64_e32 v[21:22], 4, v[21:22]
	s_delay_alu instid0(VALU_DEP_3) | instskip(NEXT) | instid1(VALU_DEP_1)
	v_ashrrev_i32_e32 v20, 31, v19
	v_lshlrev_b64_e32 v[19:20], 4, v[19:20]
	s_delay_alu instid0(VALU_DEP_1) | instskip(SKIP_1) | instid1(VALU_DEP_2)
	v_add_co_u32 v19, vcc_lo, v21, v19
	s_wait_alu 0xfffd
	v_add_co_ci_u32_e64 v20, null, v22, v20, vcc_lo
	s_delay_alu instid0(VALU_DEP_2) | instskip(SKIP_1) | instid1(VALU_DEP_2)
	v_add_co_u32 v21, vcc_lo, v48, v19
	s_wait_alu 0xfffd
	v_add_co_ci_u32_e64 v22, null, v49, v20, vcc_lo
.LBB4_126:                              ;   Parent Loop BB4_40 Depth=1
                                        ;     Parent Loop BB4_85 Depth=2
                                        ; =>    This Inner Loop Header: Depth=3
	v_dual_mov_b32 v19, v17 :: v_dual_add_nc_u32 v66, v66, v1
	v_mov_b32_e32 v20, v18
	s_delay_alu instid0(VALU_DEP_2)
	v_cmp_le_i32_e32 vcc_lo, s18, v66
	global_store_b128 v[21:22], v[17:20], off
	v_add_co_u32 v21, s10, v21, v96
	s_wait_alu 0xf1ff
	v_add_co_ci_u32_e64 v22, null, v22, v97, s10
	s_wait_alu 0xfffe
	s_or_b32 s14, vcc_lo, s14
	s_wait_alu 0xfffe
	s_and_not1_b32 exec_lo, exec_lo, s14
	s_cbranch_execnz .LBB4_126
	s_branch .LBB4_84
.LBB4_127:                              ;   in Loop: Header=BB4_85 Depth=2
	s_wait_loadcnt_dscnt 0x0
	v_ashrrev_i32_e32 v17, 31, v19
	v_dual_mov_b32 v162, v145 :: v_dual_and_b32 v21, 7, v38
	v_dual_mov_b32 v163, v135 :: v_dual_and_b32 v66, 7, v100
	v_mul_lo_u32 v22, v71, v19
	v_mad_co_u64_u32 v[19:20], null, v70, v19, 0
	v_mul_lo_u32 v17, v70, v17
	v_mul_lo_u32 v21, v21, s18
	;; [unrolled: 1-line block ×3, first 2 shown]
	v_dual_mov_b32 v66, v4 :: v_dual_add_nc_u32 v149, 1, v38
	s_mov_b32 s21, 0
	s_delay_alu instid0(VALU_DEP_4) | instskip(NEXT) | instid1(VALU_DEP_4)
	v_add3_u32 v20, v20, v17, v22
	v_ashrrev_i32_e32 v22, 31, v21
	s_delay_alu instid0(VALU_DEP_4) | instskip(NEXT) | instid1(VALU_DEP_3)
	v_ashrrev_i32_e32 v103, 31, v102
	v_lshlrev_b64_e32 v[19:20], 3, v[19:20]
	s_delay_alu instid0(VALU_DEP_3) | instskip(NEXT) | instid1(VALU_DEP_3)
	v_lshlrev_b64_e32 v[21:22], 4, v[21:22]
	v_lshlrev_b64_e32 v[112:113], 4, v[102:103]
	s_delay_alu instid0(VALU_DEP_3) | instskip(SKIP_1) | instid1(VALU_DEP_4)
	v_add_co_u32 v102, vcc_lo, v146, v19
	s_wait_alu 0xfffd
	v_add_co_ci_u32_e64 v103, null, v147, v20, vcc_lo
	s_delay_alu instid0(VALU_DEP_4)
	v_add_co_u32 v150, vcc_lo, v36, v21
	s_wait_alu 0xfffd
	v_add_co_ci_u32_e64 v151, null, v37, v22, vcc_lo
	v_add_co_u32 v160, vcc_lo, v48, v112
	s_wait_alu 0xfffd
	v_add_co_ci_u32_e64 v161, null, v49, v113, vcc_lo
	s_branch .LBB4_131
.LBB4_128:                              ;   in Loop: Header=BB4_131 Depth=3
	s_wait_alu 0xfffe
	s_or_b32 exec_lo, exec_lo, s10
.LBB4_129:                              ;   in Loop: Header=BB4_131 Depth=3
	s_wait_alu 0xfffe
	s_or_b32 exec_lo, exec_lo, s23
.LBB4_130:                              ;   in Loop: Header=BB4_131 Depth=3
	s_wait_alu 0xfffe
	s_or_b32 exec_lo, exec_lo, s22
	v_add_co_u32 v102, vcc_lo, v102, v86
	s_wait_alu 0xfffd
	v_add_co_ci_u32_e64 v103, null, v103, v87, vcc_lo
	s_wait_loadcnt 0x0
	v_add_co_u32 v17, vcc_lo, v19, v114
	v_sub_nc_u32_e32 v162, v162, v1
	s_wait_alu 0xfffd
	v_add_co_ci_u32_e64 v19, null, 0, v115, vcc_lo
	v_add_co_u32 v112, vcc_lo, v160, v112
	s_wait_alu 0xfffd
	v_add_co_ci_u32_e64 v113, null, v161, v113, vcc_lo
	v_cmp_gt_i32_e32 vcc_lo, 1, v162
	v_dual_mov_b32 v20, v18 :: v_dual_add_nc_u32 v19, v19, v21
	v_add_nc_u32_e32 v66, v66, v1
	s_or_b32 s21, vcc_lo, s21
	global_store_b128 v[112:113], v[17:20], off
	s_wait_alu 0xfffe
	s_and_not1_b32 exec_lo, exec_lo, s21
	s_cbranch_execz .LBB4_143
.LBB4_131:                              ;   Parent Loop BB4_40 Depth=1
                                        ;     Parent Loop BB4_85 Depth=2
                                        ; =>    This Loop Header: Depth=3
                                        ;         Child Loop BB4_136 Depth 4
	v_lshlrev_b64_e32 v[112:113], 4, v[66:67]
	s_delay_alu instid0(VALU_DEP_1) | instskip(SKIP_1) | instid1(VALU_DEP_2)
	v_add_co_u32 v116, vcc_lo, v150, v112
	s_wait_alu 0xfffd
	v_add_co_ci_u32_e64 v117, null, v151, v113, vcc_lo
	v_cmp_eq_u32_e32 vcc_lo, 0, v163
	v_mov_b32_e32 v163, 1
	global_load_b64 v[114:115], v[102:103], off th:TH_LOAD_NT
	global_load_b128 v[19:22], v[116:117], off th:TH_LOAD_NT
	s_and_saveexec_b32 s22, vcc_lo
	s_cbranch_execz .LBB4_130
; %bb.132:                              ;   in Loop: Header=BB4_131 Depth=3
	s_wait_loadcnt 0x0
	v_cmp_ne_u32_e32 vcc_lo, v149, v20
	v_cmp_ne_u32_e64 s10, v149, v22
	v_mov_b32_e32 v163, 0
	s_or_b32 s10, vcc_lo, s10
	s_wait_alu 0xfffe
	s_and_saveexec_b32 s23, s10
	s_cbranch_execz .LBB4_129
; %bb.133:                              ;   in Loop: Header=BB4_131 Depth=3
	v_cmp_eq_u32_e64 s10, 0, v135
	v_mov_b32_e32 v163, 0
	s_mov_b32 s24, 0
	s_mov_b32 s27, 1
                                        ; implicit-def: $sgpr25
                                        ; implicit-def: $sgpr26
	s_branch .LBB4_136
.LBB4_134:                              ;   in Loop: Header=BB4_136 Depth=4
	s_wait_alu 0xfffe
	s_or_b32 exec_lo, exec_lo, s28
	s_delay_alu instid0(SALU_CYCLE_1)
	s_and_not1_b32 s26, s26, exec_lo
	s_or_not1_b32 s11, s11, exec_lo
.LBB4_135:                              ;   in Loop: Header=BB4_136 Depth=4
	s_wait_alu 0xfffe
	s_or_b32 exec_lo, exec_lo, s40
	s_delay_alu instid0(SALU_CYCLE_1)
	s_and_b32 s11, exec_lo, s11
	s_wait_alu 0xfffe
	s_or_b32 s24, s11, s24
	s_and_not1_b32 s11, s25, exec_lo
	s_and_b32 s25, s26, exec_lo
	s_wait_alu 0xfffe
	s_or_b32 s25, s11, s25
	s_and_not1_b32 exec_lo, exec_lo, s24
	s_cbranch_execz .LBB4_141
.LBB4_136:                              ;   Parent Loop BB4_40 Depth=1
                                        ;     Parent Loop BB4_85 Depth=2
                                        ;       Parent Loop BB4_131 Depth=3
                                        ; =>      This Inner Loop Header: Depth=4
	s_wait_loadcnt 0x0
	global_load_b128 v[19:22], v[116:117], off th:TH_LOAD_NT
	s_wait_alu 0xfffe
	s_add_co_i32 s27, s27, 1
	s_mov_b32 s11, -1
	s_wait_alu 0xfffe
	s_cmp_lg_u32 s27, 0x2710
	s_mov_b32 s29, -1
	s_cselect_b32 s28, -1, 0
                                        ; implicit-def: $vgpr17
	s_wait_alu 0xfffe
	s_and_b32 vcc_lo, exec_lo, s28
	s_wait_alu 0xfffe
	s_cbranch_vccz .LBB4_138
; %bb.137:                              ;   in Loop: Header=BB4_136 Depth=4
	s_or_b32 s26, s26, exec_lo
	s_and_saveexec_b32 s40, s28
	s_cbranch_execz .LBB4_135
	s_branch .LBB4_139
.LBB4_138:                              ;   in Loop: Header=BB4_136 Depth=4
	s_trap 2
	ds_load_b64 v[163:164], v0
	s_and_not1_b32 s28, s28, exec_lo
	s_mov_b32 s27, 0
	s_or_not1_b32 s29, s10, exec_lo
	s_wait_storecnt 0x0
	s_wait_loadcnt_dscnt 0x0
	flat_load_b32 v17, v[163:164] scope:SCOPE_SYS
	s_wait_loadcnt_dscnt 0x0
	global_inv scope:SCOPE_SYS
	v_mov_b32_e32 v163, v135
	v_cmp_eq_u32_e32 vcc_lo, 0, v17
	s_and_b32 s40, vcc_lo, exec_lo
	s_wait_alu 0xfffe
	s_or_b32 s28, s28, s40
	s_or_b32 s26, s26, exec_lo
	s_wait_alu 0xfffe
	s_and_saveexec_b32 s40, s28
	s_cbranch_execz .LBB4_135
.LBB4_139:                              ;   in Loop: Header=BB4_136 Depth=4
	s_and_saveexec_b32 s28, s29
	s_cbranch_execz .LBB4_134
; %bb.140:                              ;   in Loop: Header=BB4_136 Depth=4
	s_wait_loadcnt 0x0
	v_cmp_eq_u32_e32 vcc_lo, v149, v20
	v_cmp_eq_u32_e64 s11, v149, v22
	s_and_b32 s11, vcc_lo, s11
	s_wait_alu 0xfffe
	s_or_not1_b32 s11, s11, exec_lo
	s_branch .LBB4_134
.LBB4_141:                              ;   in Loop: Header=BB4_131 Depth=3
	s_or_b32 exec_lo, exec_lo, s24
	s_wait_alu 0xfffe
	s_and_saveexec_b32 s10, s25
	s_wait_alu 0xfffe
	s_xor_b32 s10, exec_lo, s10
	s_cbranch_execz .LBB4_128
; %bb.142:                              ;   in Loop: Header=BB4_131 Depth=3
	v_mov_b32_e32 v163, 1
	v_mov_b32_e32 v135, 1
	s_wait_loadcnt 0x0
	s_wait_storecnt 0x0
	ds_store_b32 v0, v17
	s_trap 2
	s_branch .LBB4_128
.LBB4_143:                              ;   in Loop: Header=BB4_85 Depth=2
	s_or_b32 exec_lo, exec_lo, s21
	s_delay_alu instid0(SALU_CYCLE_1)
	s_or_b32 exec_lo, exec_lo, s14
	s_and_saveexec_b32 s10, s3
	s_cbranch_execz .LBB4_122
.LBB4_144:                              ;   in Loop: Header=BB4_85 Depth=2
	s_and_saveexec_b32 s11, s4
	s_wait_alu 0xfffe
	s_xor_b32 s11, exec_lo, s11
	s_cbranch_execz .LBB4_159
; %bb.145:                              ;   in Loop: Header=BB4_85 Depth=2
	s_and_saveexec_b32 s14, s5
	s_cbranch_execz .LBB4_158
; %bb.146:                              ;   in Loop: Header=BB4_85 Depth=2
	s_mov_b32 s22, exec_lo
	s_mov_b32 s21, exec_lo
	s_wait_alu 0xfffe
	v_mbcnt_lo_u32_b32 v17, s22, 0
	s_wait_storecnt 0x0
	s_wait_loadcnt_dscnt 0x0
	global_inv scope:SCOPE_DEV
	v_cmpx_eq_u32_e32 0, v17
	s_cbranch_execz .LBB4_148
; %bb.147:                              ;   in Loop: Header=BB4_85 Depth=2
	s_bcnt1_i32_b32 s22, s22
	s_wait_alu 0xfffe
	v_dual_mov_b32 v20, v67 :: v_dual_mov_b32 v19, s22
	s_wait_loadcnt 0x0
	ds_add_u64 v0, v[19:20]
	s_trap 2
.LBB4_148:                              ;   in Loop: Header=BB4_85 Depth=2
	s_or_b32 exec_lo, exec_lo, s21
	s_trap 2
	ds_load_b64 v[19:20], v0
	s_wait_dscnt 0x0
	global_inv scope:SCOPE_SE
	v_add_co_u32 v2, vcc_lo, v2, v118
	s_wait_alu 0xfffd
	v_add_co_ci_u32_e64 v3, null, 0, v3, vcc_lo
	s_mov_b32 s21, exec_lo
	v_cmpx_lt_u64_e64 v[19:20], v[2:3]
	s_cbranch_execz .LBB4_157
; %bb.149:                              ;   in Loop: Header=BB4_85 Depth=2
	s_mov_b32 s22, 0
	s_mov_b32 s25, 0
                                        ; implicit-def: $sgpr23
                                        ; implicit-def: $sgpr24
	s_branch .LBB4_151
.LBB4_150:                              ;   in Loop: Header=BB4_151 Depth=3
	s_wait_alu 0xfffe
	s_or_b32 exec_lo, exec_lo, s27
	s_delay_alu instid0(SALU_CYCLE_1)
	s_and_b32 s26, exec_lo, s28
	s_wait_alu 0xfffe
	s_or_b32 s22, s26, s22
	s_and_not1_b32 s23, s23, exec_lo
	s_and_b32 s26, s24, exec_lo
	s_wait_alu 0xfffe
	s_or_b32 s23, s23, s26
	s_and_not1_b32 exec_lo, exec_lo, s22
	s_cbranch_execz .LBB4_155
.LBB4_151:                              ;   Parent Loop BB4_40 Depth=1
                                        ;     Parent Loop BB4_85 Depth=2
                                        ; =>    This Inner Loop Header: Depth=3
	s_wait_alu 0xfffe
	s_add_co_i32 s25, s25, 1
	s_wait_alu 0xfffe
	s_cmp_lg_u32 s25, 0x2710
	s_cselect_b32 s26, -1, 0
	s_wait_alu 0xfffe
	s_and_b32 vcc_lo, exec_lo, s26
	s_wait_alu 0xfffe
	s_cbranch_vccz .LBB4_153
; %bb.152:                              ;   in Loop: Header=BB4_151 Depth=3
	s_mov_b32 s28, -1
	s_or_b32 s24, s24, exec_lo
	s_and_saveexec_b32 s27, s26
	s_cbranch_execz .LBB4_150
	s_branch .LBB4_154
.LBB4_153:                              ;   in Loop: Header=BB4_151 Depth=3
	s_trap 2
	ds_load_b64 v[19:20], v0
	s_and_not1_b32 s26, s26, exec_lo
	s_mov_b32 s25, 0
	s_wait_loadcnt_dscnt 0x0
	flat_load_b32 v17, v[19:20] scope:SCOPE_SYS
	s_wait_loadcnt_dscnt 0x0
	global_inv scope:SCOPE_SYS
	v_cmp_eq_u32_e32 vcc_lo, 0, v17
	s_and_b32 s27, vcc_lo, exec_lo
	s_wait_alu 0xfffe
	s_or_b32 s26, s26, s27
	s_mov_b32 s28, -1
	s_or_b32 s24, s24, exec_lo
	s_wait_alu 0xfffe
	s_and_saveexec_b32 s27, s26
	s_cbranch_execz .LBB4_150
.LBB4_154:                              ;   in Loop: Header=BB4_151 Depth=3
	s_sleep 1
	s_trap 2
	ds_load_b64 v[19:20], v0
	s_wait_dscnt 0x0
	global_inv scope:SCOPE_SE
	s_wait_alu 0xfffe
	s_and_not1_b32 s24, s24, exec_lo
	v_cmp_ge_u64_e32 vcc_lo, v[19:20], v[2:3]
	s_or_not1_b32 s28, vcc_lo, exec_lo
	s_branch .LBB4_150
.LBB4_155:                              ;   in Loop: Header=BB4_85 Depth=2
	s_or_b32 exec_lo, exec_lo, s22
	s_wait_alu 0xfffe
	s_and_saveexec_b32 s22, s23
	s_wait_alu 0xfffe
	s_xor_b32 s22, exec_lo, s22
	s_cbranch_execz .LBB4_157
; %bb.156:                              ;   in Loop: Header=BB4_85 Depth=2
	ds_store_b32 v0, v134
	s_trap 2
.LBB4_157:                              ;   in Loop: Header=BB4_85 Depth=2
	s_wait_alu 0xfffe
	s_or_b32 exec_lo, exec_lo, s21
	;;#ASMSTART
	s_wakeup
	;;#ASMEND
.LBB4_158:                              ;   in Loop: Header=BB4_85 Depth=2
	s_wait_alu 0xfffe
	s_or_b32 exec_lo, exec_lo, s14
.LBB4_159:                              ;   in Loop: Header=BB4_85 Depth=2
	s_wait_alu 0xfffe
	s_and_not1_saveexec_b32 s11, s11
	s_cbranch_execz .LBB4_161
; %bb.160:                              ;   in Loop: Header=BB4_85 Depth=2
	s_wait_storecnt 0x0
	s_wait_loadcnt_dscnt 0x0
	global_inv scope:SCOPE_DEV
	s_barrier_signal -1
	s_barrier_wait -1
.LBB4_161:                              ;   in Loop: Header=BB4_85 Depth=2
	s_wait_alu 0xfffe
	s_or_b32 exec_lo, exec_lo, s11
	s_delay_alu instid0(SALU_CYCLE_1)
	s_or_b32 exec_lo, exec_lo, s10
	s_and_saveexec_b32 s10, s6
	s_cbranch_execnz .LBB4_123
	s_branch .LBB4_124
.LBB4_162:                              ;   in Loop: Header=BB4_40 Depth=1
	v_dual_mov_b32 v21, v100 :: v_dual_mov_b32 v22, v101
	s_and_saveexec_b32 s11, s9
	s_cbranch_execnz .LBB4_165
; %bb.163:                              ;   in Loop: Header=BB4_40 Depth=1
	s_wait_alu 0xfffe
	s_or_b32 exec_lo, exec_lo, s11
	s_and_saveexec_b32 s9, s3
	s_cbranch_execnz .LBB4_186
.LBB4_164:                              ;   in Loop: Header=BB4_40 Depth=1
	s_wait_alu 0xfffe
	s_or_b32 exec_lo, exec_lo, s9
	s_and_saveexec_b32 s9, s6
	s_cbranch_execz .LBB4_39
	s_branch .LBB4_204
.LBB4_165:                              ;   in Loop: Header=BB4_40 Depth=1
	flat_load_b32 v17, v[23:24]
	v_dual_mov_b32 v117, v135 :: v_dual_and_b32 v20, 7, v38
	v_add_nc_u32_e32 v114, 1, v38
	s_mov_b32 s14, 0
	s_wait_loadcnt_dscnt 0x0
	v_ashrrev_i32_e32 v19, 31, v17
	v_mul_lo_u32 v66, v71, v17
	v_mad_co_u64_u32 v[17:18], null, v70, v17, 0
	s_delay_alu instid0(VALU_DEP_3) | instskip(SKIP_1) | instid1(VALU_DEP_2)
	v_mul_lo_u32 v100, v70, v19
	v_mul_lo_u32 v19, v20, s18
	v_add3_u32 v18, v18, v100, v66
	s_delay_alu instid0(VALU_DEP_2)
	v_ashrrev_i32_e32 v20, 31, v19
	v_add_co_u32 v66, vcc_lo, v11, v98
	s_wait_alu 0xfffd
	v_add_co_ci_u32_e64 v100, null, v12, v99, vcc_lo
	v_lshlrev_b64_e32 v[17:18], 3, v[17:18]
	v_lshlrev_b64_e32 v[19:20], 4, v[19:20]
	v_add_co_u32 v98, vcc_lo, v129, v98
	s_wait_alu 0xfffd
	v_add_co_ci_u32_e64 v99, null, v130, v99, vcc_lo
	s_delay_alu instid0(VALU_DEP_4)
	v_add_co_u32 v17, vcc_lo, v66, v17
	s_wait_alu 0xfffd
	v_add_co_ci_u32_e64 v18, null, v100, v18, vcc_lo
	v_add_co_u32 v115, vcc_lo, v36, v19
	s_wait_alu 0xfffd
	v_add_co_ci_u32_e64 v116, null, v37, v20, vcc_lo
	;; [unrolled: 3-line block ×3, first 2 shown]
	v_mov_b32_e32 v66, v4
	s_branch .LBB4_167
.LBB4_166:                              ;   in Loop: Header=BB4_167 Depth=2
	v_sub_nc_u32_e32 v145, v145, v1
	v_add_co_u32 v100, vcc_lo, v100, v86
	s_wait_alu 0xfffd
	v_add_co_ci_u32_e64 v101, null, v101, v87, vcc_lo
	s_delay_alu instid0(VALU_DEP_3)
	v_cmp_gt_i32_e32 vcc_lo, 1, v145
	v_add_co_u32 v98, s9, v98, v86
	s_wait_alu 0xf1ff
	v_add_co_ci_u32_e64 v99, null, v99, v87, s9
	v_add_nc_u32_e32 v66, v66, v1
	s_or_b32 s14, vcc_lo, s14
	s_wait_alu 0xfffe
	s_and_not1_b32 exec_lo, exec_lo, s14
	s_cbranch_execz .LBB4_185
.LBB4_167:                              ;   Parent Loop BB4_40 Depth=1
                                        ; =>  This Loop Header: Depth=2
                                        ;       Child Loop BB4_172 Depth 3
	s_delay_alu instid0(VALU_DEP_1) | instskip(NEXT) | instid1(VALU_DEP_1)
	v_lshlrev_b64_e32 v[17:18], 4, v[66:67]
	v_add_co_u32 v112, vcc_lo, v115, v17
	s_wait_alu 0xfffd
	s_delay_alu instid0(VALU_DEP_2)
	v_add_co_ci_u32_e64 v113, null, v116, v18, vcc_lo
	v_cmp_eq_u32_e32 vcc_lo, 0, v117
	v_mov_b32_e32 v117, 1
	global_load_b64 v[102:103], v[100:101], off th:TH_LOAD_NT
	global_load_b128 v[17:20], v[112:113], off th:TH_LOAD_NT
	s_and_saveexec_b32 s20, vcc_lo
	s_cbranch_execz .LBB4_181
; %bb.168:                              ;   in Loop: Header=BB4_167 Depth=2
	s_wait_loadcnt 0x0
	v_cmp_ne_u32_e32 vcc_lo, v114, v18
	v_cmp_ne_u32_e64 s9, v114, v20
	v_mov_b32_e32 v117, 0
	s_or_b32 s9, vcc_lo, s9
	s_wait_alu 0xfffe
	s_and_saveexec_b32 s21, s9
	s_cbranch_execz .LBB4_180
; %bb.169:                              ;   in Loop: Header=BB4_167 Depth=2
	v_cmp_eq_u32_e64 s9, 0, v135
	v_mov_b32_e32 v117, 0
	s_mov_b32 s22, 0
	s_mov_b32 s25, 1
                                        ; implicit-def: $sgpr23
                                        ; implicit-def: $sgpr24
	s_branch .LBB4_172
.LBB4_170:                              ;   in Loop: Header=BB4_172 Depth=3
	s_wait_alu 0xfffe
	s_or_b32 exec_lo, exec_lo, s26
	s_delay_alu instid0(SALU_CYCLE_1)
	s_and_not1_b32 s24, s24, exec_lo
	s_or_not1_b32 s10, s10, exec_lo
.LBB4_171:                              ;   in Loop: Header=BB4_172 Depth=3
	s_wait_alu 0xfffe
	s_or_b32 exec_lo, exec_lo, s28
	s_delay_alu instid0(SALU_CYCLE_1)
	s_and_b32 s10, exec_lo, s10
	s_wait_alu 0xfffe
	s_or_b32 s22, s10, s22
	s_and_not1_b32 s10, s23, exec_lo
	s_and_b32 s23, s24, exec_lo
	s_wait_alu 0xfffe
	s_or_b32 s23, s10, s23
	s_and_not1_b32 exec_lo, exec_lo, s22
	s_cbranch_execz .LBB4_177
.LBB4_172:                              ;   Parent Loop BB4_40 Depth=1
                                        ;     Parent Loop BB4_167 Depth=2
                                        ; =>    This Inner Loop Header: Depth=3
	s_wait_loadcnt 0x0
	global_load_b128 v[17:20], v[112:113], off th:TH_LOAD_NT
	s_wait_alu 0xfffe
	s_add_co_i32 s25, s25, 1
	s_mov_b32 s10, -1
	s_wait_alu 0xfffe
	s_cmp_lg_u32 s25, 0x2710
	s_mov_b32 s27, -1
	s_cselect_b32 s26, -1, 0
                                        ; implicit-def: $vgpr144
	s_wait_alu 0xfffe
	s_and_b32 vcc_lo, exec_lo, s26
	s_wait_alu 0xfffe
	s_cbranch_vccz .LBB4_174
; %bb.173:                              ;   in Loop: Header=BB4_172 Depth=3
	s_or_b32 s24, s24, exec_lo
	s_and_saveexec_b32 s28, s26
	s_cbranch_execz .LBB4_171
	s_branch .LBB4_175
.LBB4_174:                              ;   in Loop: Header=BB4_172 Depth=3
	s_trap 2
	ds_load_b64 v[146:147], v0
	v_mov_b32_e32 v117, v135
	s_and_not1_b32 s26, s26, exec_lo
	s_mov_b32 s25, 0
	s_or_not1_b32 s27, s9, exec_lo
	s_wait_storecnt 0x0
	s_wait_loadcnt_dscnt 0x0
	flat_load_b32 v144, v[146:147] scope:SCOPE_SYS
	s_wait_loadcnt_dscnt 0x0
	global_inv scope:SCOPE_SYS
	v_cmp_eq_u32_e32 vcc_lo, 0, v144
	s_and_b32 s28, vcc_lo, exec_lo
	s_wait_alu 0xfffe
	s_or_b32 s26, s26, s28
	s_or_b32 s24, s24, exec_lo
	s_wait_alu 0xfffe
	s_and_saveexec_b32 s28, s26
	s_cbranch_execz .LBB4_171
.LBB4_175:                              ;   in Loop: Header=BB4_172 Depth=3
	s_and_saveexec_b32 s26, s27
	s_cbranch_execz .LBB4_170
; %bb.176:                              ;   in Loop: Header=BB4_172 Depth=3
	s_wait_loadcnt 0x0
	v_cmp_eq_u32_e32 vcc_lo, v114, v18
	v_cmp_eq_u32_e64 s10, v114, v20
	s_and_b32 s10, vcc_lo, s10
	s_wait_alu 0xfffe
	s_or_not1_b32 s10, s10, exec_lo
	s_branch .LBB4_170
.LBB4_177:                              ;   in Loop: Header=BB4_167 Depth=2
	s_or_b32 exec_lo, exec_lo, s22
	s_wait_alu 0xfffe
	s_and_saveexec_b32 s9, s23
	s_wait_alu 0xfffe
	s_xor_b32 s9, exec_lo, s9
	s_cbranch_execz .LBB4_179
; %bb.178:                              ;   in Loop: Header=BB4_167 Depth=2
	v_mov_b32_e32 v117, 1
	v_mov_b32_e32 v135, 1
	s_wait_loadcnt 0x0
	s_wait_storecnt 0x0
	ds_store_b32 v0, v144
	s_trap 2
.LBB4_179:                              ;   in Loop: Header=BB4_167 Depth=2
	s_wait_alu 0xfffe
	s_or_b32 exec_lo, exec_lo, s9
.LBB4_180:                              ;   in Loop: Header=BB4_167 Depth=2
	s_wait_alu 0xfffe
	s_or_b32 exec_lo, exec_lo, s21
.LBB4_181:                              ;   in Loop: Header=BB4_167 Depth=2
	s_wait_alu 0xfffe
	s_or_b32 exec_lo, exec_lo, s20
	s_wait_loadcnt 0x0
	v_add_co_u32 v17, vcc_lo, v17, v102
	s_wait_alu 0xfffd
	v_add_co_ci_u32_e64 v18, null, 0, v103, vcc_lo
	v_mov_b32_e32 v103, v67
	s_delay_alu instid0(VALU_DEP_3) | instskip(SKIP_1) | instid1(VALU_DEP_3)
	v_add_co_u32 v17, vcc_lo, v17, 0
	s_wait_alu 0xfffd
	v_add_co_ci_u32_e64 v18, null, v18, v19, vcc_lo
	s_delay_alu instid0(VALU_DEP_2) | instskip(NEXT) | instid1(VALU_DEP_2)
	v_sub_co_u32 v19, s9, 0, v17
	v_cmp_gt_i64_e32 vcc_lo, 0, v[17:18]
	s_wait_alu 0xf1ff
	v_sub_co_ci_u32_e64 v20, null, 0, v18, s9
	s_and_b32 vcc_lo, s8, vcc_lo
	s_wait_alu 0xfffe
	v_dual_cndmask_b32 v112, v18, v20 :: v_dual_cndmask_b32 v113, v17, v19
	v_mov_b32_e32 v18, v67
	v_mov_b32_e32 v20, v67
	s_delay_alu instid0(VALU_DEP_3) | instskip(NEXT) | instid1(VALU_DEP_1)
	v_mul_hi_u32 v17, v113, v29
	v_mad_co_u64_u32 v[17:18], null, v112, v29, v[17:18]
	s_delay_alu instid0(VALU_DEP_1) | instskip(NEXT) | instid1(VALU_DEP_1)
	v_dual_mov_b32 v19, v17 :: v_dual_mov_b32 v102, v18
	v_mad_co_u64_u32 v[17:18], null, v113, v30, v[19:20]
	s_delay_alu instid0(VALU_DEP_2) | instskip(NEXT) | instid1(VALU_DEP_1)
	v_mad_co_u64_u32 v[19:20], null, v112, v30, v[102:103]
	v_add_co_u32 v102, s9, v19, v18
	s_wait_alu 0xf1ff
	s_delay_alu instid0(VALU_DEP_2) | instskip(NEXT) | instid1(VALU_DEP_2)
	v_add_co_ci_u32_e64 v20, null, 0, v20, s9
	v_mad_co_u64_u32 v[17:18], null, v102, v27, 0
	s_delay_alu instid0(VALU_DEP_1) | instskip(NEXT) | instid1(VALU_DEP_2)
	v_mad_co_u64_u32 v[18:19], null, v20, v27, v[18:19]
	v_sub_co_u32 v17, s9, v113, v17
	v_cndmask_b32_e64 v19, 0, 1, s7
	s_wait_alu 0xf1ff
	s_delay_alu instid0(VALU_DEP_3) | instskip(NEXT) | instid1(VALU_DEP_1)
	v_sub_co_ci_u32_e64 v18, null, v112, v18, s9
	v_cmp_ge_u64_e64 s9, v[17:18], v[27:28]
	s_wait_alu 0xf1ff
	s_delay_alu instid0(VALU_DEP_1) | instskip(NEXT) | instid1(VALU_DEP_1)
	v_cndmask_b32_e64 v17, 0, 1, s9
	v_add_co_u32 v17, s9, v102, v17
	s_wait_alu 0xf1ff
	v_add_co_ci_u32_e64 v18, null, 0, v20, s9
	s_delay_alu instid0(VALU_DEP_2) | instskip(SKIP_1) | instid1(VALU_DEP_2)
	v_sub_co_u32 v20, s9, 0, v17
	s_wait_alu 0xf1ff
	v_sub_co_ci_u32_e64 v102, null, 0, v18, s9
	v_cmp_ne_u32_e64 s9, 0, v19
	s_delay_alu instid0(VALU_DEP_2)
	v_dual_cndmask_b32 v17, v17, v20 :: v_dual_cndmask_b32 v18, v18, v102
	s_cmp_eq_u32 s9, exec_lo
	s_mov_b32 s9, -1
	s_cbranch_scc1 .LBB4_183
; %bb.182:                              ;   in Loop: Header=BB4_167 Depth=2
	s_mov_b32 s9, 0
	flat_store_b64 v[98:99], v[17:18]
.LBB4_183:                              ;   in Loop: Header=BB4_167 Depth=2
	s_wait_alu 0xfffe
	s_and_not1_b32 vcc_lo, exec_lo, s9
	s_wait_alu 0xfffe
	s_cbranch_vccnz .LBB4_166
; %bb.184:                              ;   in Loop: Header=BB4_167 Depth=2
	global_store_b64 v[98:99], v[17:18], off
	s_branch .LBB4_166
.LBB4_185:                              ;   in Loop: Header=BB4_40 Depth=1
	s_or_b32 exec_lo, exec_lo, s14
	s_delay_alu instid0(SALU_CYCLE_1)
	s_or_b32 exec_lo, exec_lo, s11
	s_and_saveexec_b32 s9, s3
	s_cbranch_execz .LBB4_164
.LBB4_186:                              ;   in Loop: Header=BB4_40 Depth=1
	s_and_saveexec_b32 s10, s4
	s_wait_alu 0xfffe
	s_xor_b32 s10, exec_lo, s10
	s_cbranch_execz .LBB4_201
; %bb.187:                              ;   in Loop: Header=BB4_40 Depth=1
	s_and_saveexec_b32 s11, s5
	s_cbranch_execz .LBB4_200
; %bb.188:                              ;   in Loop: Header=BB4_40 Depth=1
	s_mov_b32 s20, exec_lo
	s_mov_b32 s14, exec_lo
	s_wait_alu 0xfffe
	v_mbcnt_lo_u32_b32 v17, s20, 0
	s_wait_storecnt 0x0
	s_wait_loadcnt_dscnt 0x0
	global_inv scope:SCOPE_DEV
	v_cmpx_eq_u32_e32 0, v17
	s_cbranch_execz .LBB4_190
; %bb.189:                              ;   in Loop: Header=BB4_40 Depth=1
	s_bcnt1_i32_b32 s20, s20
	s_wait_alu 0xfffe
	v_mov_b32_e32 v66, s20
	s_wait_loadcnt 0x0
	ds_add_u64 v0, v[66:67]
	s_trap 2
.LBB4_190:                              ;   in Loop: Header=BB4_40 Depth=1
	s_or_b32 exec_lo, exec_lo, s14
	s_trap 2
	ds_load_b64 v[17:18], v0
	s_wait_dscnt 0x0
	global_inv scope:SCOPE_SE
	v_add_co_u32 v2, vcc_lo, v2, v118
	s_wait_alu 0xfffd
	v_add_co_ci_u32_e64 v3, null, 0, v3, vcc_lo
	s_mov_b32 s14, exec_lo
	v_cmpx_lt_u64_e64 v[17:18], v[2:3]
	s_cbranch_execz .LBB4_199
; %bb.191:                              ;   in Loop: Header=BB4_40 Depth=1
	s_mov_b32 s20, 0
	s_mov_b32 s23, 0
                                        ; implicit-def: $sgpr21
                                        ; implicit-def: $sgpr22
	s_branch .LBB4_193
.LBB4_192:                              ;   in Loop: Header=BB4_193 Depth=2
	s_wait_alu 0xfffe
	s_or_b32 exec_lo, exec_lo, s25
	s_delay_alu instid0(SALU_CYCLE_1)
	s_and_b32 s24, exec_lo, s26
	s_wait_alu 0xfffe
	s_or_b32 s20, s24, s20
	s_and_not1_b32 s21, s21, exec_lo
	s_and_b32 s24, s22, exec_lo
	s_wait_alu 0xfffe
	s_or_b32 s21, s21, s24
	s_and_not1_b32 exec_lo, exec_lo, s20
	s_cbranch_execz .LBB4_197
.LBB4_193:                              ;   Parent Loop BB4_40 Depth=1
                                        ; =>  This Inner Loop Header: Depth=2
	s_wait_alu 0xfffe
	s_add_co_i32 s23, s23, 1
	s_wait_alu 0xfffe
	s_cmp_lg_u32 s23, 0x2710
	s_cselect_b32 s24, -1, 0
	s_wait_alu 0xfffe
	s_and_b32 vcc_lo, exec_lo, s24
	s_wait_alu 0xfffe
	s_cbranch_vccz .LBB4_195
; %bb.194:                              ;   in Loop: Header=BB4_193 Depth=2
	s_mov_b32 s26, -1
	s_or_b32 s22, s22, exec_lo
	s_and_saveexec_b32 s25, s24
	s_cbranch_execz .LBB4_192
	s_branch .LBB4_196
.LBB4_195:                              ;   in Loop: Header=BB4_193 Depth=2
	s_trap 2
	ds_load_b64 v[17:18], v0
	s_and_not1_b32 s24, s24, exec_lo
	s_mov_b32 s23, 0
	s_wait_loadcnt_dscnt 0x0
	flat_load_b32 v17, v[17:18] scope:SCOPE_SYS
	s_wait_loadcnt_dscnt 0x0
	global_inv scope:SCOPE_SYS
	v_cmp_eq_u32_e32 vcc_lo, 0, v17
	s_and_b32 s25, vcc_lo, exec_lo
	s_wait_alu 0xfffe
	s_or_b32 s24, s24, s25
	s_mov_b32 s26, -1
	s_or_b32 s22, s22, exec_lo
	s_wait_alu 0xfffe
	s_and_saveexec_b32 s25, s24
	s_cbranch_execz .LBB4_192
.LBB4_196:                              ;   in Loop: Header=BB4_193 Depth=2
	s_sleep 1
	s_trap 2
	ds_load_b64 v[17:18], v0
	s_wait_dscnt 0x0
	global_inv scope:SCOPE_SE
	s_wait_alu 0xfffe
	s_and_not1_b32 s22, s22, exec_lo
	v_cmp_ge_u64_e32 vcc_lo, v[17:18], v[2:3]
	s_or_not1_b32 s26, vcc_lo, exec_lo
	s_branch .LBB4_192
.LBB4_197:                              ;   in Loop: Header=BB4_40 Depth=1
	s_or_b32 exec_lo, exec_lo, s20
	s_wait_alu 0xfffe
	s_and_saveexec_b32 s20, s21
	s_wait_alu 0xfffe
	s_xor_b32 s20, exec_lo, s20
	s_cbranch_execz .LBB4_199
; %bb.198:                              ;   in Loop: Header=BB4_40 Depth=1
	ds_store_b32 v0, v134
	s_trap 2
.LBB4_199:                              ;   in Loop: Header=BB4_40 Depth=1
	s_wait_alu 0xfffe
	s_or_b32 exec_lo, exec_lo, s14
	;;#ASMSTART
	s_wakeup
	;;#ASMEND
.LBB4_200:                              ;   in Loop: Header=BB4_40 Depth=1
	s_wait_alu 0xfffe
	s_or_b32 exec_lo, exec_lo, s11
.LBB4_201:                              ;   in Loop: Header=BB4_40 Depth=1
	s_wait_alu 0xfffe
	s_and_not1_saveexec_b32 s10, s10
	s_cbranch_execz .LBB4_203
; %bb.202:                              ;   in Loop: Header=BB4_40 Depth=1
	s_wait_storecnt 0x0
	s_wait_loadcnt_dscnt 0x0
	global_inv scope:SCOPE_DEV
	s_barrier_signal -1
	s_barrier_wait -1
.LBB4_203:                              ;   in Loop: Header=BB4_40 Depth=1
	s_wait_alu 0xfffe
	s_or_b32 exec_lo, exec_lo, s10
	s_delay_alu instid0(SALU_CYCLE_1)
	s_or_b32 exec_lo, exec_lo, s9
	s_and_saveexec_b32 s9, s6
	s_cbranch_execz .LBB4_39
.LBB4_204:                              ;   in Loop: Header=BB4_40 Depth=1
	v_add_co_u32 v50, vcc_lo, v50, 1
	s_wait_alu 0xfffd
	v_add_co_ci_u32_e64 v51, null, 0, v51, vcc_lo
	global_wb scope:SCOPE_SYS
	s_wait_storecnt 0x0
	s_wait_loadcnt_dscnt 0x0
	flat_store_b64 v[52:53], v[50:51] scope:SCOPE_SYS
	s_branch .LBB4_39
.LBB4_205:
	s_or_b32 exec_lo, exec_lo, s13
	s_delay_alu instid0(SALU_CYCLE_1)
	s_or_b32 exec_lo, exec_lo, s17
	s_and_saveexec_b32 s1, s16
	s_cbranch_execz .LBB4_24
.LBB4_206:
	s_wait_loadcnt_dscnt 0x0
	flat_store_b64 v[34:35], v[50:51] offset:104
	s_wait_alu 0xfffe
	s_or_b32 exec_lo, exec_lo, s1
	s_and_saveexec_b32 s1, s0
	s_cbranch_execnz .LBB4_25
	s_branch .LBB4_26
.LBB4_207:
	s_or_b32 exec_lo, exec_lo, s4
	s_wait_alu 0xfffe
	s_and_saveexec_b32 s4, s5
	s_wait_alu 0xfffe
	s_xor_b32 s4, exec_lo, s4
	s_cbranch_execz .LBB4_209
; %bb.208:
	v_mov_b32_e32 v0, 1
	ds_store_b32 v0, v0
	s_trap 2
.LBB4_209:
	s_wait_alu 0xfffe
	s_or_b32 exec_lo, exec_lo, s3
	;;#ASMSTART
	s_wakeup
	;;#ASMEND
.LBB4_210:
	s_wait_alu 0xfffe
	s_or_b32 exec_lo, exec_lo, s2
.LBB4_211:
	s_wait_alu 0xfffe
	s_and_not1_saveexec_b32 s1, s1
	s_cbranch_execz .LBB4_213
; %bb.212:
	s_wait_storecnt 0x0
	s_wait_loadcnt_dscnt 0x0
	global_inv scope:SCOPE_DEV
	s_barrier_signal -1
	s_barrier_wait -1
.LBB4_213:
	s_wait_alu 0xfffe
	s_or_b32 exec_lo, exec_lo, s0
	s_wait_loadcnt_dscnt 0x0
	s_setpc_b64 s[30:31]
.Lfunc_end4:
	.size	_ZN12_GLOBAL__N_17runRingIm14FuncSumPostDivImE7ProtoLLLi0ELi4ELi0EEEviiP15ncclDevWorkColl, .Lfunc_end4-_ZN12_GLOBAL__N_17runRingIm14FuncSumPostDivImE7ProtoLLLi0ELi4ELi0EEEviiP15ncclDevWorkColl
                                        ; -- End function
	.set .L_ZN12_GLOBAL__N_17runRingIm14FuncSumPostDivImE7ProtoLLLi0ELi4ELi0EEEviiP15ncclDevWorkColl.num_vgpr, 165
	.set .L_ZN12_GLOBAL__N_17runRingIm14FuncSumPostDivImE7ProtoLLLi0ELi4ELi0EEEviiP15ncclDevWorkColl.num_agpr, 0
	.set .L_ZN12_GLOBAL__N_17runRingIm14FuncSumPostDivImE7ProtoLLLi0ELi4ELi0EEEviiP15ncclDevWorkColl.numbered_sgpr, 41
	.set .L_ZN12_GLOBAL__N_17runRingIm14FuncSumPostDivImE7ProtoLLLi0ELi4ELi0EEEviiP15ncclDevWorkColl.num_named_barrier, 0
	.set .L_ZN12_GLOBAL__N_17runRingIm14FuncSumPostDivImE7ProtoLLLi0ELi4ELi0EEEviiP15ncclDevWorkColl.private_seg_size, 0
	.set .L_ZN12_GLOBAL__N_17runRingIm14FuncSumPostDivImE7ProtoLLLi0ELi4ELi0EEEviiP15ncclDevWorkColl.uses_vcc, 1
	.set .L_ZN12_GLOBAL__N_17runRingIm14FuncSumPostDivImE7ProtoLLLi0ELi4ELi0EEEviiP15ncclDevWorkColl.uses_flat_scratch, 1
	.set .L_ZN12_GLOBAL__N_17runRingIm14FuncSumPostDivImE7ProtoLLLi0ELi4ELi0EEEviiP15ncclDevWorkColl.has_dyn_sized_stack, 0
	.set .L_ZN12_GLOBAL__N_17runRingIm14FuncSumPostDivImE7ProtoLLLi0ELi4ELi0EEEviiP15ncclDevWorkColl.has_recursion, 0
	.set .L_ZN12_GLOBAL__N_17runRingIm14FuncSumPostDivImE7ProtoLLLi0ELi4ELi0EEEviiP15ncclDevWorkColl.has_indirect_call, 0
	.section	.AMDGPU.csdata,"",@progbits
; Function info:
; codeLenInByte = 13016
; TotalNumSgprs: 43
; NumVgprs: 165
; ScratchSize: 0
; MemoryBound: 0
	.text
	.p2align	2                               ; -- Begin function _Z54ncclDevFunc_ReduceScatter_RING_LL_SumPostDiv_u64_0_0_4v
	.type	_Z54ncclDevFunc_ReduceScatter_RING_LL_SumPostDiv_u64_0_0_4v,@function
_Z54ncclDevFunc_ReduceScatter_RING_LL_SumPostDiv_u64_0_0_4v: ; @_Z54ncclDevFunc_ReduceScatter_RING_LL_SumPostDiv_u64_0_0_4v
; %bb.0:
	s_wait_loadcnt_dscnt 0x0
	s_wait_expcnt 0x0
	s_wait_samplecnt 0x0
	s_wait_bvhcnt 0x0
	s_wait_kmcnt 0x0
	s_mov_b32 s46, s33
	s_mov_b32 s33, s32
	s_or_saveexec_b32 s0, -1
	scratch_store_b32 off, v40, s33         ; 4-byte Folded Spill
	s_wait_alu 0xfffe
	s_mov_b32 exec_lo, s0
	v_writelane_b32 v40, s30, 0
	s_add_co_i32 s32, s32, 16
	v_writelane_b32 v40, s31, 1
	s_trap 2
	ds_load_b32 v0, v0
	v_and_b32_e32 v165, 0x3ff, v31
	s_mov_b32 s41, s12
	s_mov_b64 s[42:43], s[8:9]
	s_mov_b32 s2, exec_lo
	s_wait_dscnt 0x0
	v_cmpx_lt_i32_e64 v165, v0
	s_cbranch_execz .LBB5_5
; %bb.1:
	s_load_b32 s0, s[42:43], 0x0
	s_mov_b32 s1, 0
	v_mov_b32_e32 v2, v165
                                        ; implicit-def: $vgpr3
	s_wait_kmcnt 0x0
	s_cmp_lt_u32 ttmp9, s0
	s_cselect_b32 s0, 12, 18
	s_wait_alu 0xfffe
	s_add_nc_u64 s[4:5], s[42:43], s[0:1]
	s_load_u16 s0, s[4:5], 0x0
	s_trap 2
	ds_load_b32 v1, v0
	s_wait_dscnt 0x0
	s_wait_kmcnt 0x0
	v_mul_lo_u32 v1, v1, s0
	s_branch .LBB5_3
.LBB5_2:                                ;   in Loop: Header=BB5_3 Depth=1
	s_wait_alu 0xfffe
	s_or_b32 exec_lo, exec_lo, s3
	v_add_nc_u32_e32 v2, s0, v2
	v_add_nc_u32_e32 v3, v3, v1
	s_delay_alu instid0(VALU_DEP_2)
	v_cmp_ge_i32_e32 vcc_lo, v2, v0
	s_or_b32 s1, vcc_lo, s1
	s_wait_alu 0xfffe
	s_and_not1_b32 exec_lo, exec_lo, s1
	s_cbranch_execz .LBB5_5
.LBB5_3:                                ; =>This Inner Loop Header: Depth=1
	ds_load_b32 v4, v3
	s_mov_b32 s3, exec_lo
	s_wait_dscnt 0x0
	v_and_b32_e32 v4, 0x1000000, v4
	s_delay_alu instid0(VALU_DEP_1)
	v_cmpx_ne_u32_e32 0, v4
	s_cbranch_execz .LBB5_2
; %bb.4:                                ;   in Loop: Header=BB5_3 Depth=1
	ds_load_b64 v[4:5], v3 offset:104
	s_wait_dscnt 0x0
	flat_load_b64 v[4:5], v[4:5]
	s_wait_loadcnt_dscnt 0x0
	ds_store_b64 v3, v[4:5] offset:104
	s_branch .LBB5_2
.LBB5_5:
	s_wait_alu 0xfffe
	s_or_b32 exec_lo, exec_lo, s2
	s_wait_storecnt_dscnt 0x0
	s_barrier_signal -1
	s_barrier_wait -1
	global_inv scope:SCOPE_SE
	s_trap 2
	ds_load_b32 v0, v0
	s_wait_dscnt 0x0
	v_cmp_gt_i32_e32 vcc_lo, 1, v0
	s_cbranch_vccnz .LBB5_13
; %bb.6:
	s_mov_b32 s44, 0
	s_branch .LBB5_8
.LBB5_7:                                ;   in Loop: Header=BB5_8 Depth=1
	s_wait_alu 0xfffe
	s_or_b32 exec_lo, exec_lo, s45
	s_trap 2
	ds_load_b32 v0, v0
	s_add_co_i32 s44, s44, 1
	s_wait_dscnt 0x0
	s_wait_alu 0xfffe
	v_cmp_lt_i32_e32 vcc_lo, s44, v0
	s_cbranch_vccz .LBB5_13
.LBB5_8:                                ; =>This Inner Loop Header: Depth=1
	s_trap 2
	ds_load_b32 v0, v0
	s_wait_alu 0xfffe
	s_cmp_eq_u32 s44, 0
	s_cbranch_scc1 .LBB5_11
; %bb.9:                                ;   in Loop: Header=BB5_8 Depth=1
	s_trap 2
	s_wait_dscnt 0x0
	ds_load_b32 v1, v0
	s_wait_dscnt 0x0
	v_xor_b32_e32 v1, v1, v0
	s_delay_alu instid0(VALU_DEP_1) | instskip(NEXT) | instid1(VALU_DEP_1)
	v_and_b32_e32 v1, 0xff0000, v1
	v_cmp_eq_u32_e32 vcc_lo, 0, v1
	s_cbranch_vccnz .LBB5_11
; %bb.10:                               ;   in Loop: Header=BB5_8 Depth=1
	s_wait_loadcnt 0x0
	s_barrier_signal -1
	s_barrier_wait -1
	global_inv scope:SCOPE_SE
	ds_load_b32 v0, v0
.LBB5_11:                               ;   in Loop: Header=BB5_8 Depth=1
	s_wait_dscnt 0x0
	v_lshrrev_b32_e32 v0, 11, v0
	s_mov_b32 s45, exec_lo
	s_delay_alu instid0(VALU_DEP_1) | instskip(NEXT) | instid1(VALU_DEP_1)
	v_and_b32_e32 v1, 0x1fe0, v0
	v_cmpx_lt_u32_e64 v165, v1
	s_cbranch_execz .LBB5_7
; %bb.12:                               ;   in Loop: Header=BB5_8 Depth=1
	s_mov_b64 s[0:1], src_shared_base
	s_wait_alu 0xfffe
	v_dual_mov_b32 v0, v165 :: v_dual_mov_b32 v3, s1
	s_getpc_b64 s[2:3]
	s_wait_alu 0xfffe
	s_sext_i32_i16 s3, s3
	s_add_co_u32 s2, s2, _ZN12_GLOBAL__N_17runRingIm14FuncSumPostDivImE7ProtoLLLi0ELi4ELi0EEEviiP15ncclDevWorkColl@rel32@lo+12
	s_wait_alu 0xfffe
	s_add_co_ci_u32 s3, s3, _ZN12_GLOBAL__N_17runRingIm14FuncSumPostDivImE7ProtoLLLi0ELi4ELi0EEEviiP15ncclDevWorkColl@rel32@hi+24
	s_mov_b64 s[8:9], s[42:43]
	s_mov_b32 s12, s41
	s_wait_alu 0xfffe
	s_swappc_b64 s[30:31], s[2:3]
	s_branch .LBB5_7
.LBB5_13:
	v_readlane_b32 s30, v40, 0
	v_readlane_b32 s31, v40, 1
	s_mov_b32 s32, s33
	s_or_saveexec_b32 s0, -1
	scratch_load_b32 v40, off, s33          ; 4-byte Folded Reload
	s_wait_alu 0xfffe
	s_mov_b32 exec_lo, s0
	s_mov_b32 s33, s46
	s_wait_loadcnt 0x0
	s_wait_alu 0xfffe
	s_setpc_b64 s[30:31]
.Lfunc_end5:
	.size	_Z54ncclDevFunc_ReduceScatter_RING_LL_SumPostDiv_u64_0_0_4v, .Lfunc_end5-_Z54ncclDevFunc_ReduceScatter_RING_LL_SumPostDiv_u64_0_0_4v
                                        ; -- End function
	.set .L_Z54ncclDevFunc_ReduceScatter_RING_LL_SumPostDiv_u64_0_0_4v.num_vgpr, max(166, .L_ZN12_GLOBAL__N_17runRingIm14FuncSumPostDivImE7ProtoLLLi0ELi4ELi0EEEviiP15ncclDevWorkColl.num_vgpr)
	.set .L_Z54ncclDevFunc_ReduceScatter_RING_LL_SumPostDiv_u64_0_0_4v.num_agpr, max(0, .L_ZN12_GLOBAL__N_17runRingIm14FuncSumPostDivImE7ProtoLLLi0ELi4ELi0EEEviiP15ncclDevWorkColl.num_agpr)
	.set .L_Z54ncclDevFunc_ReduceScatter_RING_LL_SumPostDiv_u64_0_0_4v.numbered_sgpr, max(47, .L_ZN12_GLOBAL__N_17runRingIm14FuncSumPostDivImE7ProtoLLLi0ELi4ELi0EEEviiP15ncclDevWorkColl.numbered_sgpr)
	.set .L_Z54ncclDevFunc_ReduceScatter_RING_LL_SumPostDiv_u64_0_0_4v.num_named_barrier, max(0, .L_ZN12_GLOBAL__N_17runRingIm14FuncSumPostDivImE7ProtoLLLi0ELi4ELi0EEEviiP15ncclDevWorkColl.num_named_barrier)
	.set .L_Z54ncclDevFunc_ReduceScatter_RING_LL_SumPostDiv_u64_0_0_4v.private_seg_size, 16+max(.L_ZN12_GLOBAL__N_17runRingIm14FuncSumPostDivImE7ProtoLLLi0ELi4ELi0EEEviiP15ncclDevWorkColl.private_seg_size)
	.set .L_Z54ncclDevFunc_ReduceScatter_RING_LL_SumPostDiv_u64_0_0_4v.uses_vcc, or(1, .L_ZN12_GLOBAL__N_17runRingIm14FuncSumPostDivImE7ProtoLLLi0ELi4ELi0EEEviiP15ncclDevWorkColl.uses_vcc)
	.set .L_Z54ncclDevFunc_ReduceScatter_RING_LL_SumPostDiv_u64_0_0_4v.uses_flat_scratch, or(0, .L_ZN12_GLOBAL__N_17runRingIm14FuncSumPostDivImE7ProtoLLLi0ELi4ELi0EEEviiP15ncclDevWorkColl.uses_flat_scratch)
	.set .L_Z54ncclDevFunc_ReduceScatter_RING_LL_SumPostDiv_u64_0_0_4v.has_dyn_sized_stack, or(0, .L_ZN12_GLOBAL__N_17runRingIm14FuncSumPostDivImE7ProtoLLLi0ELi4ELi0EEEviiP15ncclDevWorkColl.has_dyn_sized_stack)
	.set .L_Z54ncclDevFunc_ReduceScatter_RING_LL_SumPostDiv_u64_0_0_4v.has_recursion, or(1, .L_ZN12_GLOBAL__N_17runRingIm14FuncSumPostDivImE7ProtoLLLi0ELi4ELi0EEEviiP15ncclDevWorkColl.has_recursion)
	.set .L_Z54ncclDevFunc_ReduceScatter_RING_LL_SumPostDiv_u64_0_0_4v.has_indirect_call, or(0, .L_ZN12_GLOBAL__N_17runRingIm14FuncSumPostDivImE7ProtoLLLi0ELi4ELi0EEEviiP15ncclDevWorkColl.has_indirect_call)
	.section	.AMDGPU.csdata,"",@progbits
; Function info:
; codeLenInByte = 680
; TotalNumSgprs: 49
; NumVgprs: 166
; ScratchSize: 16
; MemoryBound: 0
	.text
	.p2alignl 7, 3214868480
	.fill 96, 4, 3214868480
	.section	.AMDGPU.gpr_maximums,"",@progbits
	.set amdgpu.max_num_vgpr, 166
	.set amdgpu.max_num_agpr, 0
	.set amdgpu.max_num_sgpr, 47
	.text
	.type	__hip_cuid_1d2a246ada354210,@object ; @__hip_cuid_1d2a246ada354210
	.section	.bss,"aw",@nobits
	.globl	__hip_cuid_1d2a246ada354210
__hip_cuid_1d2a246ada354210:
	.byte	0                               ; 0x0
	.size	__hip_cuid_1d2a246ada354210, 1

	.ident	"AMD clang version 22.0.0git (https://github.com/RadeonOpenCompute/llvm-project roc-7.2.4 26084 f58b06dce1f9c15707c5f808fd002e18c2accf7e)"
	.section	".note.GNU-stack","",@progbits
	.addrsig
	.addrsig_sym _Z54ncclDevFunc_ReduceScatter_RING_LL_SumPostDiv_u64_0_0_1v
	.addrsig_sym _Z54ncclDevFunc_ReduceScatter_RING_LL_SumPostDiv_u64_0_0_2v
	.addrsig_sym _Z54ncclDevFunc_ReduceScatter_RING_LL_SumPostDiv_u64_0_0_4v
	.addrsig_sym ncclShmem
	.addrsig_sym __hip_cuid_1d2a246ada354210
	.amdgpu_metadata
---
amdhsa.kernels:  []
amdhsa.target:   amdgcn-amd-amdhsa--gfx1201
amdhsa.version:
  - 1
  - 2
...

	.end_amdgpu_metadata
